;; amdgpu-corpus repo=ROCm/aiter kind=harvested arch=n/a opt=n/a

/root/src/amdgpu-assembly/repos/ROCm__aiter/hsa/gfx950/fmha_v3_bwd/bwd_hd128_fp16_causal_a16_psskddv_group.co:	file format elf64-amdgpu

Disassembly of section .text:

0000000000004000 <_ZN5aiter44fmha_bwd_hd128_fp16_causal_a16_psskddv_groupE>:
	s_and_b32 s1, s1, 0xffff                                   // 000000004000: 8601FF01 0000FFFF
	s_load_dwordx2 s[32:33], s[0:1], 0x0                       // 000000004008: C0060800 00000000
	s_load_dwordx2 s[36:37], s[0:1], 0x10                      // 000000004010: C0060900 00000010
	s_load_dwordx2 s[40:41], s[0:1], 0x20                      // 000000004018: C0060A00 00000020
	s_load_dwordx2 s[8:9], s[0:1], 0x30                        // 000000004020: C0060200 00000030
	s_load_dwordx2 s[12:13], s[0:1], 0x40                      // 000000004028: C0060300 00000040
	s_load_dwordx2 s[16:17], s[0:1], 0x50                      // 000000004030: C0060400 00000050
	s_load_dwordx2 s[20:21], s[0:1], 0x60                      // 000000004038: C0060500 00000060
	s_load_dwordx2 s[24:25], s[0:1], 0x70                      // 000000004040: C0060600 00000070
	s_load_dwordx2 s[28:29], s[0:1], 0x80                      // 000000004048: C0060700 00000080
	s_load_dword s47, s[0:1], 0x90                             // 000000004050: C0020BC0 00000090
	s_load_dword s48, s[0:1], 0xa0                             // 000000004058: C0020C00 000000A0
	s_load_dword s78, s[0:1], 0xd0                             // 000000004060: C0021380 000000D0
	s_load_dword s5, s[0:1], 0xf0                              // 000000004068: C0020140 000000F0
	s_load_dword s44, s[0:1], 0x100                            // 000000004070: C0020B00 00000100
	s_load_dword s80, s[0:1], 0x110                            // 000000004078: C0021400 00000110
	s_load_dword s6, s[0:1], 0x130                             // 000000004080: C0020180 00000130
	s_load_dword s52, s[0:1], 0x140                            // 000000004088: C0020D00 00000140
	s_load_dword s63, s[0:1], 0x160                            // 000000004090: C0020FC0 00000160
	s_load_dword s64, s[0:1], 0x180                            // 000000004098: C0021000 00000180
	s_load_dword s79, s[0:1], 0x190                            // 0000000040A0: C00213C0 00000190
	s_load_dword s7, s[0:1], 0x1b0                             // 0000000040A8: C00201C0 000001B0
	s_load_dword s81, s[0:1], 0x1c0                            // 0000000040B0: C0021440 000001C0
	s_load_dword s51, s[0:1], 0x1e0                            // 0000000040B8: C0020CC0 000001E0
	s_load_dword s82, s[0:1], 0x1f0                            // 0000000040C0: C0021480 000001F0
	s_load_dword s83, s[0:1], 0x210                            // 0000000040C8: C00214C0 00000210
	s_load_dword s53, s[0:1], 0x230                            // 0000000040D0: C0020D40 00000230
	s_load_dword s98, s[0:1], 0x240                            // 0000000040D8: C0021880 00000240
	s_load_dwordx2 s[56:57], s[0:1], 0x250                     // 0000000040E0: C0060E00 00000250
	s_load_dwordx2 s[100:101], s[0:1], 0x260                   // 0000000040E8: C0061900 00000260
	s_load_dwordx2 s[68:69], s[0:1], 0x270                     // 0000000040F0: C0061100 00000270
	s_load_dwordx2 s[72:73], s[0:1], 0x280                     // 0000000040F8: C0061200 00000280
	s_load_dword s99, s[0:1], 0x290                            // 000000004100: C00218C0 00000290
	v_lshrrev_b32_e32 v1, 10, v0                               // 000000004108: 2002008A
	v_lshrrev_b32_e32 v2, 10, v1                               // 00000000410C: 2004028A
	v_and_b32_e32 v2, 0x3ff, v2                                // 000000004110: 260404FF 000003FF
	v_and_b32_e32 v1, 0x3ff, v1                                // 000000004118: 260202FF 000003FF
	v_and_b32_e32 v0, 0x3ff, v0                                // 000000004120: 260000FF 000003FF
	v_lshrrev_b32_e32 v3, 6, v0                                // 000000004128: 20060086
	v_and_b32_e32 v0, 63, v0                                   // 00000000412C: 260000BF
	s_mov_b32 s2, s2                                           // 000000004130: BE820002
	s_mov_b32 s3, s3                                           // 000000004134: BE830003
	s_mov_b32 s4, s4                                           // 000000004138: BE840004
	v_readfirstlane_b32 s46, v3                                // 00000000413C: 7E5C0503
	s_waitcnt lgkmcnt(0)                                       // 000000004140: BF8CC07F
	s_mul_i32 s60, s4, 4                                       // 000000004144: 923C8404
	s_add_u32 s56, s60, s56                                    // 000000004148: 8038383C
	s_addc_u32 s57, 0, s57                                     // 00000000414C: 82393980
	s_load_dwordx2 s[84:85], s[56:57], 0x0                     // 000000004150: C006151C 00000000
	s_add_u32 s68, s60, s68                                    // 000000004158: 8044443C
	s_addc_u32 s69, 0, s69                                     // 00000000415C: 82454580
	s_load_dword s88, s[68:69], 0x0                            // 000000004160: C0021622 00000000
	s_add_u32 s100, s60, s100                                  // 000000004168: 8064643C
	s_addc_u32 s101, 0, s101                                   // 00000000416C: 82656580
	s_load_dwordx2 s[86:87], s[100:101], 0x0                   // 000000004170: C00615B2 00000000
	s_add_u32 s72, s60, s72                                    // 000000004178: 8048483C
	s_addc_u32 s73, 0, s73                                     // 00000000417C: 82494980
	s_load_dword s89, s[72:73], 0x0                            // 000000004180: C0021664 00000000
	s_mov_b32 s11, 0x20000                                     // 000000004188: BE8B00FF 00020000
	s_mov_b32 s15, 0x20000                                     // 000000004190: BE8F00FF 00020000
	s_mov_b32 s19, 0x20000                                     // 000000004198: BE9300FF 00020000
	s_mov_b32 s23, 0x20000                                     // 0000000041A0: BE9700FF 00020000
	s_mov_b32 s27, 0x20000                                     // 0000000041A8: BE9B00FF 00020000
	s_mov_b32 s31, 0x20000                                     // 0000000041B0: BE9F00FF 00020000
	s_mov_b32 s35, 0x20000                                     // 0000000041B8: BEA300FF 00020000
	s_mov_b32 s39, 0x20000                                     // 0000000041C0: BEA700FF 00020000
	s_mov_b32 s43, 0x20000                                     // 0000000041C8: BEAB00FF 00020000
	s_and_b32 s9, s9, 0xffff                                   // 0000000041D0: 8609FF09 0000FFFF
	s_and_b32 s13, s13, 0xffff                                 // 0000000041D8: 860DFF0D 0000FFFF
	s_and_b32 s17, s17, 0xffff                                 // 0000000041E0: 8611FF11 0000FFFF
	s_and_b32 s21, s21, 0xffff                                 // 0000000041E8: 8615FF15 0000FFFF
	s_and_b32 s25, s25, 0xffff                                 // 0000000041F0: 8619FF19 0000FFFF
	s_and_b32 s29, s29, 0xffff                                 // 0000000041F8: 861DFF1D 0000FFFF
	s_and_b32 s33, s33, 0xffff                                 // 000000004200: 8621FF21 0000FFFF
	s_and_b32 s37, s37, 0xffff                                 // 000000004208: 8625FF25 0000FFFF
	s_and_b32 s41, s41, 0xffff                                 // 000000004210: 8629FF29 0000FFFF
	s_or_b32 s9, s9, 0x40000                                   // 000000004218: 8709FF09 00040000
	s_or_b32 s13, s13, 0x40000                                 // 000000004220: 870DFF0D 00040000
	s_or_b32 s17, s17, 0x40000                                 // 000000004228: 8711FF11 00040000
	s_or_b32 s21, s21, 0x40000                                 // 000000004230: 8715FF15 00040000
	s_or_b32 s25, s25, 0x40000                                 // 000000004238: 8719FF19 00040000
	s_or_b32 s29, s29, 0x40000                                 // 000000004240: 871DFF1D 00040000
	s_or_b32 s33, s33, 0x40000                                 // 000000004248: 8721FF21 00040000
	s_or_b32 s37, s37, 0x40000                                 // 000000004250: 8725FF25 00040000
	s_or_b32 s41, s41, 0x40000                                 // 000000004258: 8729FF29 00040000
	s_waitcnt lgkmcnt(0)                                       // 000000004260: BF8CC07F
	s_mul_i32 s61, s2, 0x200                                   // 000000004264: 923DFF02 00000200
	s_sub_i32 s50, s87, s86                                    // 00000000426C: 81B25657
	s_mov_b32 s86, s89                                         // 000000004270: BED60059
	s_sub_i32 s49, s85, s84                                    // 000000004274: 81B15455
	s_mov_b32 s84, s88                                         // 000000004278: BED40058
	s_cmp_eq_i32 s49, 0                                        // 00000000427C: BF008031
	s_cbranch_scc1 label_2459                                  // 000000004280: BF852390
	s_cmp_ge_i32 s61, s50                                      // 000000004284: BF03323D
	s_cbranch_scc1 label_2459                                  // 000000004288: BF85238E
	v_accvgpr_write_b32 a255, 0                                // 00000000428C: D3D940FF 18000080
	v_mov_b32_e32 v255, 0                                      // 000000004294: 7FFE0280
	s_mov_b32 s71, s3                                          // 000000004298: BEC70003
	v_cvt_f32_u32_e32 v20, s44                                 // 00000000429C: 7E280C2C
	s_sub_i32 s60, 0, s44                                      // 0000000042A0: 81BC2C80
	v_rcp_iflag_f32_e32 v20, v20                               // 0000000042A4: 7E284714
	s_nop 0                                                    // 0000000042A8: BF800000
	v_mul_f32_e32 v20, 0x4f7ffffe, v20                         // 0000000042AC: 0A2828FF 4F7FFFFE
	v_cvt_u32_f32_e32 v20, v20                                 // 0000000042B4: 7E280F14
	v_mul_lo_u32 v21, s60, v20                                 // 0000000042B8: D2850015 0002283C
	v_mul_hi_u32 v21, v20, v21                                 // 0000000042C0: D2860015 00022B14
	v_add_u32_e32 v20, v20, v21                                // 0000000042C8: 68282B14
	v_mul_hi_u32 v20, s71, v20                                 // 0000000042CC: D2860014 00022847
	v_mul_lo_u32 v21, v20, s44                                 // 0000000042D4: D2850015 00005914
	v_sub_u32_e32 v23, s71, v21                                // 0000000042DC: 6A2E2A47
	v_add_u32_e32 v22, 1, v20                                  // 0000000042E0: 682C2881
	v_cmp_le_u32_e32 vcc, s44, v23                             // 0000000042E4: 7D962E2C
	v_subrev_u32_e32 v21, s44, v23                             // 0000000042E8: 6C2A2E2C
	s_nop 0                                                    // 0000000042EC: BF800000
	v_cndmask_b32_e32 v20, v20, v22, vcc                       // 0000000042F0: 00282D14
	v_cndmask_b32_e32 v23, v23, v21, vcc                       // 0000000042F4: 002E2B17
	v_add_u32_e32 v21, 1, v20                                  // 0000000042F8: 682A2881
	v_cmp_le_u32_e32 vcc, s44, v23                             // 0000000042FC: 7D962E2C
	s_nop 1                                                    // 000000004300: BF800001
	v_cndmask_b32_e32 v23, v20, v21, vcc                       // 000000004304: 002E2B14
	s_nop 3                                                    // 000000004308: BF800003
	v_readfirstlane_b32 s45, v23                               // 00000000430C: 7E5A0517
	s_nop 3                                                    // 000000004310: BF800003
	s_mul_i32 s61, s45, s80                                    // 000000004314: 923D502D
	s_mov_b32 s54, s61                                         // 000000004318: BEB6003D
	s_add_u32 s12, s54, s12                                    // 00000000431C: 800C0C36
	s_addc_u32 s13, 0, s13                                     // 000000004320: 820D0D80
	s_mul_i32 s60, s86, s6                                     // 000000004324: 923C0656
	s_mul_hi_u32 s61, s86, s6                                  // 000000004328: 963D0656
	s_and_b32 s61, s61, 0xffff                                 // 00000000432C: 863DFF3D 0000FFFF
	s_add_u32 s12, s12, s60                                    // 000000004334: 800C3C0C
	s_addc_u32 s13, s13, s61                                   // 000000004338: 820D3D0D
	s_mul_i32 s61, s45, s79                                    // 00000000433C: 923D4F2D
	s_mov_b32 s54, s61                                         // 000000004340: BEB6003D
	s_add_u32 s16, s54, s16                                    // 000000004344: 80101036
	s_addc_u32 s17, 0, s17                                     // 000000004348: 82111180
	s_mul_i32 s60, s86, s7                                     // 00000000434C: 923C0756
	s_mul_hi_u32 s61, s86, s7                                  // 000000004350: 963D0756
	s_and_b32 s61, s61, 0xffff                                 // 000000004354: 863DFF3D 0000FFFF
	s_add_u32 s16, s16, s60                                    // 00000000435C: 80103C10
	s_addc_u32 s17, s17, s61                                   // 000000004360: 82113D11
	s_mul_i32 s61, s3, s78                                     // 000000004364: 923D4E03
	s_mul_i32 s62, s84, s5                                     // 000000004368: 923E0554
	s_mov_b32 s55, s61                                         // 00000000436C: BEB7003D
	s_add_u32 s8, s55, s8                                      // 000000004370: 80080837
	s_addc_u32 s9, 0, s9                                       // 000000004374: 82090980
	s_mul_i32 s60, s5, s49                                     // 000000004378: 923C3105
	s_sub_i32 s61, s60, s61                                    // 00000000437C: 81BD3D3C
	s_cmp_ge_i32 s5, s78                                       // 000000004380: BF034E05
	s_cselect_b32 s60, s61, s60                                // 000000004384: 853C3C3D
	s_lshr_b32 s60, s60, 2                                     // 000000004388: 8F3C823C
	s_mov_b32 s10, s60                                         // 00000000438C: BE8A003C
	s_mul_i32 s60, s84, s5                                     // 000000004390: 923C0554
	s_mul_hi_u32 s61, s84, s5                                  // 000000004394: 963D0554
	s_and_b32 s61, s61, 0xffff                                 // 000000004398: 863DFF3D 0000FFFF
	s_add_u32 s8, s8, s60                                      // 0000000043A0: 80083C08
	s_addc_u32 s9, s9, s61                                     // 0000000043A4: 82093D09
	s_mul_i32 s61, s3, s81                                     // 0000000043A8: 923D5103
	s_mul_i32 s62, s84, s51                                    // 0000000043AC: 923E3354
	s_mov_b32 s56, s61                                         // 0000000043B0: BEB8003D
	s_add_u32 s20, s56, s20                                    // 0000000043B4: 80141438
	s_addc_u32 s21, 0, s21                                     // 0000000043B8: 82151580
	s_mul_i32 s60, s51, s49                                    // 0000000043BC: 923C3133
	s_sub_i32 s61, s60, s61                                    // 0000000043C0: 81BD3D3C
	s_cmp_ge_i32 s51, s81                                      // 0000000043C4: BF035133
	s_cselect_b32 s60, s61, s60                                // 0000000043C8: 853C3C3D
	s_lshr_b32 s60, s60, 2                                     // 0000000043CC: 8F3C823C
	s_mov_b32 s22, s60                                         // 0000000043D0: BE96003C
	s_mul_i32 s60, s84, s51                                    // 0000000043D4: 923C3354
	s_mul_hi_u32 s61, s84, s51                                 // 0000000043D8: 963D3354
	s_and_b32 s61, s61, 0xffff                                 // 0000000043DC: 863DFF3D 0000FFFF
	s_add_u32 s20, s20, s60                                    // 0000000043E4: 80143C14
	s_addc_u32 s21, s21, s61                                   // 0000000043E8: 82153D15
	s_mul_i32 s61, s3, s98                                     // 0000000043EC: 923D6203
	s_mov_b32 s65, s61                                         // 0000000043F0: BEC1003D
	s_mov_b32 s26, s49                                         // 0000000043F4: BE9A0031
	s_mov_b32 s30, s49                                         // 0000000043F8: BE9E0031
	s_add_u32 s24, s65, s24                                    // 0000000043FC: 80181841
	s_addc_u32 s25, 0, s25                                     // 000000004400: 82191980
	s_add_u32 s28, s65, s28                                    // 000000004404: 801C1C41
	s_addc_u32 s29, 0, s29                                     // 000000004408: 821D1D80
	s_mul_i32 s60, 4, s84                                      // 00000000440C: 923C5484
	s_mul_hi_u32 s61, 4, s84                                   // 000000004410: 963D5484
	s_and_b32 s61, s61, 0xffff                                 // 000000004414: 863DFF3D 0000FFFF
	s_add_u32 s24, s24, s60                                    // 00000000441C: 80183C18
	s_addc_u32 s25, s25, s61                                   // 000000004420: 82193D19
	s_add_u32 s28, s28, s60                                    // 000000004424: 801C3C1C
	s_addc_u32 s29, s29, s61                                   // 000000004428: 821D3D1D
	s_mul_i32 s61, s3, s82                                     // 00000000442C: 923D5203
	s_mov_b32 s60, s61                                         // 000000004430: BEBC003D
	s_add_u32 s36, s60, s36                                    // 000000004434: 8024243C
	s_addc_u32 s37, 0, s37                                     // 000000004438: 82252580
	s_mul_i32 s60, s50, s52                                    // 00000000443C: 923C3432
	s_lshr_b32 s60, s60, 2                                     // 000000004440: 8F3C823C
	s_mov_b32 s38, s60                                         // 000000004444: BEA6003C
	s_mul_i32 s60, s86, s52                                    // 000000004448: 923C3456
	s_mul_hi_u32 s61, s86, s52                                 // 00000000444C: 963D3456
	s_and_b32 s61, s61, 0xffff                                 // 000000004450: 863DFF3D 0000FFFF
	s_add_u32 s36, s36, s60                                    // 000000004458: 80243C24
	s_addc_u32 s37, s37, s61                                   // 00000000445C: 82253D25
	s_mul_i32 s61, s3, s83                                     // 000000004460: 923D5303
	s_mov_b32 s60, s61                                         // 000000004464: BEBC003D
	s_add_u32 s40, s60, s40                                    // 000000004468: 8028283C
	s_addc_u32 s41, 0, s41                                     // 00000000446C: 82292980
	s_mul_i32 s60, s50, s53                                    // 000000004470: 923C3532
	s_lshr_b32 s60, s60, 2                                     // 000000004474: 8F3C823C
	s_mov_b32 s42, s60                                         // 000000004478: BEAA003C
	s_mul_i32 s60, s86, s53                                    // 00000000447C: 923C3556
	s_mul_hi_u32 s61, s86, s53                                 // 000000004480: 963D3556
	s_and_b32 s61, s61, 0xffff                                 // 000000004484: 863DFF3D 0000FFFF
	s_add_u32 s40, s40, s60                                    // 00000000448C: 80283C28
	s_addc_u32 s41, s41, s61                                   // 000000004490: 82293D29
	s_add_u32 s60, s49, 15                                     // 000000004494: 803C8F31
	s_lshr_b32 s60, s60, 4                                     // 000000004498: 8F3C843C
	s_lshl_b32 s60, s60, 4                                     // 00000000449C: 8E3C843C
	s_mul_i32 s61, s99, 0x100                                  // 0000000044A0: 923DFF63 00000100
	s_mul_i32 s62, s61, s64                                    // 0000000044A8: 923E403D
	s_mul_i32 s61, s3, s61                                     // 0000000044AC: 923D3D03
	s_add_u32 s32, s61, s32                                    // 0000000044B0: 8020203D
	s_addc_u32 s33, 0, s33                                     // 0000000044B4: 82212180
	s_mul_i32 s60, 0x100, s60                                  // 0000000044B8: 923C3CFF 00000100
	s_mov_b32 s34, s60                                         // 0000000044C0: BEA2003C
	s_mul_i32 s60, s4, s62                                     // 0000000044C4: 923C3E04
	s_mul_hi_u32 s61, s4, s62                                  // 0000000044C8: 963D3E04
	s_and_b32 s61, s61, 0xffff                                 // 0000000044CC: 863DFF3D 0000FFFF
	s_add_u32 s32, s32, s60                                    // 0000000044D4: 80203C20
	s_addc_u32 s33, s33, s61                                   // 0000000044D8: 82213D21
	s_mov_b32 s90, s8                                          // 0000000044DC: BEDA0008
	s_mov_b32 s92, s12                                         // 0000000044E0: BEDC000C
	s_mov_b32 s94, s16                                         // 0000000044E4: BEDE0010
	s_mov_b32 s96, s20                                         // 0000000044E8: BEE00014
	s_mov_b32 s91, s9                                          // 0000000044EC: BEDB0009
	s_mov_b32 s93, s13                                         // 0000000044F0: BEDD000D
	s_mov_b32 s95, s17                                         // 0000000044F4: BEDF0011
	s_mov_b32 s97, s21                                         // 0000000044F8: BEE10015
	s_add_u32 s71, 0xff, s50                                   // 0000000044FC: 804732FF 000000FF
	s_mov_b32 s74, 0x100                                       // 000000004504: BECA00FF 00000100
	v_cvt_f32_u32_e32 v20, s74                                 // 00000000450C: 7E280C4A
	s_sub_i32 s60, 0, s74                                      // 000000004510: 81BC4A80
	v_rcp_iflag_f32_e32 v20, v20                               // 000000004514: 7E284714
	s_nop 0                                                    // 000000004518: BF800000
	v_mul_f32_e32 v20, 0x4f7ffffe, v20                         // 00000000451C: 0A2828FF 4F7FFFFE
	v_cvt_u32_f32_e32 v20, v20                                 // 000000004524: 7E280F14
	v_mul_lo_u32 v21, s60, v20                                 // 000000004528: D2850015 0002283C
	v_mul_hi_u32 v21, v20, v21                                 // 000000004530: D2860015 00022B14
	v_add_u32_e32 v20, v20, v21                                // 000000004538: 68282B14
	v_mul_hi_u32 v20, s71, v20                                 // 00000000453C: D2860014 00022847
	v_mul_lo_u32 v21, v20, s74                                 // 000000004544: D2850015 00009514
	v_sub_u32_e32 v23, s71, v21                                // 00000000454C: 6A2E2A47
	v_add_u32_e32 v22, 1, v20                                  // 000000004550: 682C2881
	v_cmp_le_u32_e32 vcc, s74, v23                             // 000000004554: 7D962E4A
	v_subrev_u32_e32 v21, s74, v23                             // 000000004558: 6C2A2E4A
	s_nop 0                                                    // 00000000455C: BF800000
	v_cndmask_b32_e32 v20, v20, v22, vcc                       // 000000004560: 00282D14
	v_cndmask_b32_e32 v23, v23, v21, vcc                       // 000000004564: 002E2B17
	v_add_u32_e32 v21, 1, v20                                  // 000000004568: 682A2881
	v_cmp_le_u32_e32 vcc, s74, v23                             // 00000000456C: 7D962E4A
	s_nop 1                                                    // 000000004570: BF800001
	v_cndmask_b32_e32 v23, v20, v21, vcc                       // 000000004574: 002E2B14
	s_nop 3                                                    // 000000004578: BF800003
	v_readfirstlane_b32 s77, v23                               // 00000000457C: 7E9A0517
	s_nop 3                                                    // 000000004580: BF800003
	v_mov_b32_e32 v20, s47                                     // 000000004584: 7E28022F
	v_mul_f32_e32 v20, s48, v20                                // 000000004588: 0A282830
	s_mov_b32 s58, s49                                         // 00000000458C: BEBA0031
	s_mov_b32 s59, 0                                           // 000000004590: BEBB0080
	v_readfirstlane_b32 s57, v20                               // 000000004594: 7E720514
	s_mov_b32 s67, 0x1000                                      // 000000004598: BEC300FF 00001000
	s_cmp_lt_u32 s46, 2                                        // 0000000045A0: BF0A822E
	s_cselect_b32 s24, s24, s28                                // 0000000045A4: 85181C18
	s_cselect_b32 s25, s25, s29                                // 0000000045A8: 85191D19
	s_cselect_b32 s26, s26, s30                                // 0000000045AC: 851A1E1A
	s_cselect_b32 s27, s27, s31                                // 0000000045B0: 851B1F1B
	s_mov_b32 s75, 0                                           // 0000000045B4: BECB0080
	s_mov_b32 s76, 1                                           // 0000000045B8: BECC0081
	s_lshl_b32 s60, s2, 1                                      // 0000000045BC: 8E3C8102
	s_add_u32 s60, 1, s60                                      // 0000000045C0: 803C3C81
	s_cmp_ge_i32 s60, s77                                      // 0000000045C4: BF034D3C
	s_cselect_b32 s76, s76, 2                                  // 0000000045C8: 854C824C

00000000000045cc <label_0173>:
	s_mov_b32 s66, 0                                           // 0000000045CC: BEC20080
	v_mov_b32_e32 v125, 0xff800000                             // 0000000045D0: 7EFA02FF FF800000
	s_mov_b32 s74, 0                                           // 0000000045D8: BECA0080
	s_mul_i32 s68, 4, s5                                       // 0000000045DC: 92440584
	s_mul_i32 s98, 4, s51                                      // 0000000045E0: 92623384
	s_mov_b32 s69, 16                                          // 0000000045E4: BEC50090
	s_mul_i32 s59, 0x100, s2                                   // 0000000045E8: 923B02FF 00000100
	s_mul_i32 s54, s6, s59                                     // 0000000045F0: 92363B06
	s_mul_hi_u32 s60, s6, s59                                  // 0000000045F4: 963C3B06
	s_sub_i32 s61, s50, s59                                    // 0000000045F8: 81BD3B32
	s_mul_i32 s62, s6, s61                                     // 0000000045FC: 923E3D06
	s_lshr_b32 s62, s62, 2                                     // 000000004600: 8F3E823E
	s_mov_b32 s14, s62                                         // 000000004604: BE8E003E
	s_and_b32 s60, s60, 0xffff                                 // 000000004608: 863CFF3C 0000FFFF
	s_add_u32 s12, s54, s92                                    // 000000004610: 800C5C36
	s_addc_u32 s13, s60, s93                                   // 000000004614: 820D5D3C
	s_mul_i32 s54, s7, s59                                     // 000000004618: 92363B07
	s_mul_hi_u32 s60, s7, s59                                  // 00000000461C: 963C3B07
	s_mul_i32 s62, s7, s61                                     // 000000004620: 923E3D07
	s_lshr_b32 s62, s62, 2                                     // 000000004624: 8F3E823E
	s_mov_b32 s18, s62                                         // 000000004628: BE92003E
	s_and_b32 s60, s60, 0xffff                                 // 00000000462C: 863CFF3C 0000FFFF
	s_add_u32 s16, s54, s94                                    // 000000004634: 80105E36
	s_addc_u32 s17, s60, s95                                   // 000000004638: 82115F3C
	s_mov_b32 s71, s6                                          // 00000000463C: BEC70006
	v_and_b32_e32 v20, 3, v0                                   // 000000004640: 26280083
	v_and_b32_e32 v21, 1, v20                                  // 000000004644: 262A2881
	v_lshrrev_b32_e32 v22, 1, v20                              // 000000004648: 202C2881
	v_lshrrev_b32_e32 v20, 5, v0                               // 00000000464C: 20280085
	v_xor_b32_e32 v22, v22, v20                                // 000000004650: 2A2C2916
	v_lshlrev_b32_e32 v22, 1, v22                              // 000000004654: 242C2C81
	v_add_u32_e32 v21, v22, v21                                // 000000004658: 682A2B16
	v_lshlrev_b32_e32 v21, 4, v21                              // 00000000465C: 242A2A84
	v_lshrrev_b32_e32 v20, 2, v0                               // 000000004660: 20280082
	v_mul_i32_i24_e32 v20, s71, v20                            // 000000004664: 0C282847
	v_add_u32_e32 v1, v20, v21                                 // 000000004668: 68022B14
	s_mul_i32 s60, s46, 64                                     // 00000000466C: 923CC02E
	v_add_u32_e32 v1, s60, v1                                  // 000000004670: 6802023C
	s_mov_b32 s71, s7                                          // 000000004674: BEC70007
	v_and_b32_e32 v20, 3, v0                                   // 000000004678: 26280083
	v_and_b32_e32 v21, 1, v20                                  // 00000000467C: 262A2881
	v_lshrrev_b32_e32 v22, 1, v20                              // 000000004680: 202C2881
	v_lshrrev_b32_e32 v20, 5, v0                               // 000000004684: 20280085
	v_xor_b32_e32 v22, v22, v20                                // 000000004688: 2A2C2916
	v_lshlrev_b32_e32 v22, 1, v22                              // 00000000468C: 242C2C81
	v_add_u32_e32 v21, v22, v21                                // 000000004690: 682A2B16
	v_lshlrev_b32_e32 v21, 4, v21                              // 000000004694: 242A2A84
	v_lshrrev_b32_e32 v20, 2, v0                               // 000000004698: 20280082
	v_mul_i32_i24_e32 v20, s71, v20                            // 00000000469C: 0C282847
	v_add_u32_e32 v254, v20, v21                               // 0000000046A0: 69FC2B14
	s_mul_i32 s60, s46, 64                                     // 0000000046A4: 923CC02E
	v_add_u32_e32 v254, s60, v254                              // 0000000046A8: 69FDFC3C
	v_lshrrev_b32_e32 v1, 2, v1                                // 0000000046AC: 20020282
	v_lshrrev_b32_e32 v254, 2, v254                            // 0000000046B0: 21FDFC82
	s_mov_b32 s70, s52                                         // 0000000046B4: BEC60034
	v_lshrrev_b32_e32 v20, 4, v0                               // 0000000046B8: 20280084
	v_mul_i32_i24_e32 v2, s70, v20                             // 0000000046BC: 0C042846
	v_lshrrev_b32_e32 v2, 2, v2                                // 0000000046C0: 20040482
	v_and_b32_e32 v20, 15, v0                                  // 0000000046C4: 2628008F
	v_lshlrev_b32_e32 v21, 2, v20                              // 0000000046C8: 242A2882
	v_add_u32_e32 v2, v21, v2                                  // 0000000046CC: 68040515
	s_mul_i32 s60, 16, s70                                     // 0000000046D0: 923C4690
	s_mul_i32 s60, s46, s60                                    // 0000000046D4: 923C3C2E
	v_lshlrev_b32_e32 v2, 2, v2                                // 0000000046D8: 24040482
	v_add_u32_e32 v2, s60, v2                                  // 0000000046DC: 6804043C
	s_mul_i32 s60, s52, s59                                    // 0000000046E0: 923C3B34
	v_add_u32_e32 v2, s60, v2                                  // 0000000046E4: 6804043C
	v_lshrrev_b32_e32 v2, 2, v2                                // 0000000046E8: 20040482
	s_mov_b32 s70, s53                                         // 0000000046EC: BEC60035
	v_lshrrev_b32_e32 v20, 4, v0                               // 0000000046F0: 20280084
	v_mul_i32_i24_e32 v3, s70, v20                             // 0000000046F4: 0C062846
	v_lshrrev_b32_e32 v3, 2, v3                                // 0000000046F8: 20060682
	v_and_b32_e32 v20, 15, v0                                  // 0000000046FC: 2628008F
	v_lshlrev_b32_e32 v21, 2, v20                              // 000000004700: 242A2882
	v_add_u32_e32 v3, v21, v3                                  // 000000004704: 68060715
	s_mul_i32 s60, 16, s70                                     // 000000004708: 923C4690
	s_mul_i32 s60, s46, s60                                    // 00000000470C: 923C3C2E
	v_lshlrev_b32_e32 v3, 2, v3                                // 000000004710: 24060682
	v_add_u32_e32 v3, s60, v3                                  // 000000004714: 6806063C
	s_mul_i32 s60, s53, s59                                    // 000000004718: 923C3B35
	v_add_u32_e32 v3, s60, v3                                  // 00000000471C: 6806063C
	v_lshrrev_b32_e32 v3, 2, v3                                // 000000004720: 20060682
	s_cmp_ge_i32 s59, s49                                      // 000000004724: BF03313B
	s_cselect_b32 s59, s49, s59                                // 000000004728: 853B3B31
	s_add_u32 s73, 16, s59                                     // 00000000472C: 80493B90
	s_mul_i32 s65, s59, 4                                      // 000000004730: 9241843B
	v_and_b32_e32 v8, 15, v0                                   // 000000004734: 2610008F
	v_lshlrev_b32_e32 v8, 2, v8                                // 000000004738: 24101082
	v_add_u32_e32 v8, s65, v8                                  // 00000000473C: 68101041
	v_lshrrev_b32_e32 v8, 2, v8                                // 000000004740: 20101082
	v_mov_b32_e32 v4, v0                                       // 000000004744: 7E080300
	s_mul_i32 s60, s46, 0x100                                  // 000000004748: 923CFF2E 00000100
	v_add_u32_e32 v4, s60, v4                                  // 000000004750: 6808083C
	v_lshlrev_b32_e32 v4, 2, v4                                // 000000004754: 24080882
	v_add_u32_e32 v5, 0x100, v4                                // 000000004758: 680A08FF 00000100
	v_add_u32_e32 v6, 0x100, v5                                // 000000004760: 680C0AFF 00000100
	v_add_u32_e32 v7, 0x100, v6                                // 000000004768: 680E0CFF 00000100
	s_mul_i32 s60, 0x100, s59                                  // 000000004770: 923C3BFF 00000100
	v_add_u32_e32 v4, s60, v4                                  // 000000004778: 6808083C
	v_add_u32_e32 v5, s60, v5                                  // 00000000477C: 680A0A3C
	v_add_u32_e32 v6, s60, v6                                  // 000000004780: 680C0C3C
	v_add_u32_e32 v7, s60, v7                                  // 000000004784: 680E0E3C
	s_mul_i32 s60, 2, s2                                       // 000000004788: 923C0282
	s_add_u32 s61, s50, 0x7f                                   // 00000000478C: 803DFF32 0000007F
	s_lshr_b32 s61, s61, 7                                     // 000000004794: 8F3D873D
	s_sub_i32 s72, s61, s60                                    // 000000004798: 81C83C3D
	s_cmp_lt_i32 s72, 2                                        // 00000000479C: BF048248
	s_cselect_b32 s72, s72, 2                                  // 0000000047A0: 85488248
	s_mul_i32 s60, 0x100, s2                                   // 0000000047A4: 923C02FF 00000100
	s_sub_i32 s99, s50, s60                                    // 0000000047AC: 81E33C32
	s_lshr_b32 s60, s46, 1                                     // 0000000047B0: 8F3C812E
	s_lshl_b32 s60, s60, 8                                     // 0000000047B4: 8E3C883C
	s_add_u32 s78, 0xa400, s60                                 // 0000000047B8: 804E3CFF 0000A400
	s_add_u32 s79, 0x200, s78                                  // 0000000047C0: 804F4EFF 00000200
	s_add_u32 s80, 0x200, s79                                  // 0000000047C8: 80504FFF 00000200
	s_add_u32 s81, 0x200, s80                                  // 0000000047D0: 805150FF 00000200
	s_mul_i32 s60, s46, 0x400                                  // 0000000047D8: 923CFF2E 00000400
	s_add_u32 s82, 0, s60                                      // 0000000047E0: 80523C80
	s_add_u32 s83, 0x1000, s82                                 // 0000000047E4: 805352FF 00001000
	s_add_u32 s84, 0x1000, s83                                 // 0000000047EC: 805453FF 00001000
	s_add_u32 s85, 0x1000, s84                                 // 0000000047F4: 805554FF 00001000
	s_add_u32 s86, 0x4000, s60                                 // 0000000047FC: 80563CFF 00004000
	s_add_u32 s87, 0x1000, s86                                 // 000000004804: 805756FF 00001000
	s_add_u32 s88, 0x1000, s87                                 // 00000000480C: 805857FF 00001000
	s_add_u32 s89, 0x1000, s88                                 // 000000004814: 805958FF 00001000
	v_lshrrev_b32_e32 v20, 4, v0                               // 00000000481C: 20280084
	v_and_b32_e32 v21, 1, v20                                  // 000000004820: 262A2881
	v_lshrrev_b32_e32 v22, 1, v20                              // 000000004824: 202C2881
	v_and_b32_e32 v20, 15, v0                                  // 000000004828: 2628008F
	v_lshlrev_b32_e32 v9, 4, v20                               // 00000000482C: 24122884
	v_lshrrev_b32_e32 v20, 3, v20                              // 000000004830: 20282883
	v_xor_b32_e32 v20, v20, v22                                // 000000004834: 2A282D14
	v_lshlrev_b32_e32 v20, 1, v20                              // 000000004838: 24282881
	v_add_u32_e32 v20, v21, v20                                // 00000000483C: 68282915
	v_lshlrev_b32_e32 v20, 2, v20                              // 000000004840: 24282882
	v_add_u32_e32 v9, v20, v9                                  // 000000004844: 68121314
	v_lshlrev_b32_e32 v9, 2, v9                                // 000000004848: 24121282
	s_mul_i32 s60, s46, 0x1000                                 // 00000000484C: 923CFF2E 00001000
	v_add_u32_e32 v14, s60, v9                                 // 000000004854: 681C123C
	v_and_b32_e32 v20, 15, v0                                  // 000000004858: 2628008F
	v_and_b32_e32 v21, 3, v20                                  // 00000000485C: 262A2883
	v_lshrrev_b32_e32 v22, 2, v20                              // 000000004860: 202C2882
	v_lshlrev_b32_e32 v21, 1, v21                              // 000000004864: 242A2A81
	v_lshlrev_b32_e32 v22, 4, v22                              // 000000004868: 242C2C84
	v_add_u32_e32 v10, v21, v22                                // 00000000486C: 68142D15
	v_lshrrev_b32_e32 v20, 5, v0                               // 000000004870: 20280085
	v_mul_i32_i24_e32 v21, 0x400, v20                          // 000000004874: 0C2A28FF 00000400
	v_mul_i32_i24_e32 v22, 0x80, v20                           // 00000000487C: 0C2C28FF 00000080
	v_add_u32_e32 v15, v21, v10                                // 000000004884: 681E1515
	v_add_u32_e32 v10, v22, v10                                // 000000004888: 68141516
	v_lshrrev_b32_e32 v21, 4, v0                               // 00000000488C: 202A0084
	v_and_b32_e32 v21, 1, v21                                  // 000000004890: 262A2A81
	v_mul_i32_i24_e32 v22, 0x80, v21                           // 000000004894: 0C2C2AFF 00000080
	v_add_u32_e32 v15, v22, v15                                // 00000000489C: 681E1F16
	v_xor_b32_e32 v20, v20, v21                                // 0000000048A0: 2A282B14
	v_mul_i32_i24_e32 v20, 8, v20                              // 0000000048A4: 0C282888
	v_add_u32_e32 v10, v20, v10                                // 0000000048A8: 68141514
	v_mul_i32_i24_e32 v20, 8, v21                              // 0000000048AC: 0C282A88
	v_xor_b32_e32 v21, 1, v21                                  // 0000000048B0: 2A2A2A81
	v_mul_i32_i24_e32 v21, 8, v21                              // 0000000048B4: 0C2A2A88
	v_add_u32_e32 v16, v21, v15                                // 0000000048B8: 68201F15
	v_add_u32_e32 v15, v20, v15                                // 0000000048BC: 681E1F14
	v_lshlrev_b32_e32 v10, 2, v10                              // 0000000048C0: 24141482
	v_lshlrev_b32_e32 v15, 2, v15                              // 0000000048C4: 241E1E82
	v_lshlrev_b32_e32 v16, 2, v16                              // 0000000048C8: 24202082
	s_mul_i32 s60, s46, 0x400                                  // 0000000048CC: 923CFF2E 00000400
	v_add_u32_e32 v15, s60, v15                                // 0000000048D4: 681E1E3C
	v_add_u32_e32 v16, s60, v16                                // 0000000048D8: 6820203C
	v_lshrrev_b32_e32 v20, 4, v0                               // 0000000048DC: 20280084
	v_mul_i32_i24_e32 v13, 4, v20                              // 0000000048E0: 0C1A2884
	v_and_b32_e32 v21, 3, v0                                   // 0000000048E4: 262A0083
	v_add_u32_e32 v13, v21, v13                                // 0000000048E8: 681A1B15
	v_lshlrev_b32_e32 v13, 2, v13                              // 0000000048EC: 241A1A82
	v_and_b32_e32 v20, 15, v0                                  // 0000000048F0: 2628008F
	v_and_b32_e32 v21, 3, v20                                  // 0000000048F4: 262A2883
	v_and_b32_e32 v22, 1, v21                                  // 0000000048F8: 262C2A81
	v_lshlrev_b32_e32 v11, 5, v22                              // 0000000048FC: 24162C85
	v_lshrrev_b32_e32 v21, 1, v21                              // 000000004900: 202A2A81
	v_mul_i32_i24_e32 v21, 0x48, v21                           // 000000004904: 0C2A2AFF 00000048
	v_add_u32_e32 v11, v21, v11                                // 00000000490C: 68161715
	v_lshrrev_b32_e32 v21, 2, v20                              // 000000004910: 202A2882
	v_lshlrev_b32_e32 v21, 1, v21                              // 000000004914: 242A2A81
	v_add_u32_e32 v11, v21, v11                                // 000000004918: 68161715
	v_lshrrev_b32_e32 v20, 5, v0                               // 00000000491C: 20280085
	v_mul_i32_i24_e32 v20, 0x90, v20                           // 000000004920: 0C2828FF 00000090
	v_and_b32_e32 v21, 16, v0                                  // 000000004928: 262A0090
	v_add_u32_e32 v11, v20, v11                                // 00000000492C: 68161714
	v_add_u32_e32 v11, v21, v11                                // 000000004930: 68161715
	v_lshlrev_b32_e32 v11, 2, v11                              // 000000004934: 24161682
	v_lshrrev_b32_e32 v20, 5, v0                               // 000000004938: 20280085
	v_mul_i32_i24_e32 v12, 0x48, v20                           // 00000000493C: 0C1828FF 00000048
	v_and_b32_e32 v20, 31, v0                                  // 000000004944: 2628009F
	v_lshlrev_b32_e32 v20, 1, v20                              // 000000004948: 24282881
	v_add_u32_e32 v12, v20, v12                                // 00000000494C: 68181914
	s_mul_i32 s60, s46, 0x90                                   // 000000004950: 923CFF2E 00000090
	v_add_u32_e32 v12, s60, v12                                // 000000004958: 6818183C
	v_lshlrev_b32_e32 v12, 2, v12                              // 00000000495C: 24181882
	s_lshl_b32 s60, s46, 2                                     // 000000004960: 8E3C822E
	v_and_b32_e32 v20, 3, v0                                   // 000000004964: 26280083
	v_and_b32_e32 v21, 1, v20                                  // 000000004968: 262A2881
	v_lshrrev_b32_e32 v22, 1, v20                              // 00000000496C: 202C2881
	v_lshrrev_b32_e32 v20, 5, v0                               // 000000004970: 20280085
	v_xor_b32_e32 v22, v22, v20                                // 000000004974: 2A2C2916
	v_lshlrev_b32_e32 v22, 1, v22                              // 000000004978: 242C2C81
	v_add_u32_e32 v21, v22, v21                                // 00000000497C: 682A2B16
	v_add_u32_e64 v21, v21, s60                                // 000000004980: D1340015 00007915
	s_lshr_b32 s60, s63, 3                                     // 000000004988: 8F3C833F
	v_cmp_lt_u32_e64 s[44:45], v21, s60                        // 00000000498C: D0C9002C 00007915
	s_mov_b32 s100, -1                                         // 000000004994: BEE400C1
	s_mov_b32 s101, -1                                         // 000000004998: BEE500C1
	v_accvgpr_write_b32 a0, 0                                  // 00000000499C: D3D94000 18000080
	v_accvgpr_write_b32 a1, 0                                  // 0000000049A4: D3D94001 18000080
	v_accvgpr_write_b32 a2, 0                                  // 0000000049AC: D3D94002 18000080
	v_accvgpr_write_b32 a3, 0                                  // 0000000049B4: D3D94003 18000080
	s_lshr_b32 s60, s46, 1                                     // 0000000049BC: 8F3C812E
	s_mul_i32 s60, s60, 4                                      // 0000000049C0: 923C843C
	s_and_b32 s61, s46, 1                                      // 0000000049C4: 863D812E
	s_addk_i32 s61, 0x2                                        // 0000000049C8: B73D0002
	s_add_u32 s60, s61, s60                                    // 0000000049CC: 803C3C3D
	s_mul_i32 s60, s60, 0x400                                  // 0000000049D0: 923CFF3C 00000400
	v_mov_b32_e32 v20, s60                                     // 0000000049D8: 7E28023C
	v_lshlrev_b32_e32 v21, 4, v0                               // 0000000049DC: 242A0084
	v_add_u32_e32 v20, v20, v21                                // 0000000049E0: 68282B14
	ds_write_b128 v20, a[0:3]                                  // 0000000049E4: DBBE0000 00000014
	ds_write_b128 v20, a[0:3] offset:8192                      // 0000000049EC: DBBE2000 00000014
	ds_write_b128 v20, a[0:3] offset:16384                     // 0000000049F4: DBBE4000 00000014
	ds_write_b128 v20, a[0:3] offset:24576                     // 0000000049FC: DBBE6000 00000014
	ds_write_b128 v20, a[0:3] offset:32768                     // 000000004A04: DBBE8000 00000014
	ds_write_b128 v20, a[0:3] offset:40960                     // 000000004A0C: DBBEA000 00000014
	ds_write_b128 v20, a[0:3] offset:49152                     // 000000004A14: DBBEC000 00000014
	ds_write_b128 v20, a[0:3] offset:57344                     // 000000004A1C: DBBEE000 00000014
	s_waitcnt lgkmcnt(0)                                       // 000000004A24: BF8CC07F
	s_barrier                                                  // 000000004A28: BF8A0000
	s_mul_i32 s60, s46, 0x400                                  // 000000004A2C: 923CFF2E 00000400
	s_add_u32 m0, 0, s60                                       // 000000004A34: 807C3C80
	s_mov_b64 exec, s[44:45]                                   // 000000004A38: BEFE012C
	buffer_load_dwordx4 v254, s[16:19], 0 idxen lds            // 000000004A3C: E05D2000 800400FE
	s_mov_b64 exec, s[100:101]                                 // 000000004A44: BEFE0164
	s_add_u32 m0, 0x1000, m0                                   // 000000004A48: 807C7CFF 00001000
	s_mul_i32 s60, 4, s7                                       // 000000004A50: 923C0784
	v_add_u32_e32 v254, s60, v254                              // 000000004A54: 69FDFC3C
	s_mov_b64 exec, s[44:45]                                   // 000000004A58: BEFE012C
	buffer_load_dwordx4 v254, s[16:19], 0 idxen lds            // 000000004A5C: E05D2000 800400FE
	s_mov_b64 exec, s[100:101]                                 // 000000004A64: BEFE0164
	s_add_u32 m0, 0x1000, m0                                   // 000000004A68: 807C7CFF 00001000
	s_mul_i32 s60, 4, s7                                       // 000000004A70: 923C0784
	v_add_u32_e32 v254, s60, v254                              // 000000004A74: 69FDFC3C
	s_mov_b64 exec, s[44:45]                                   // 000000004A78: BEFE012C
	buffer_load_dwordx4 v254, s[16:19], 0 idxen lds            // 000000004A7C: E05D2000 800400FE
	s_mov_b64 exec, s[100:101]                                 // 000000004A84: BEFE0164
	s_add_u32 m0, 0x1000, m0                                   // 000000004A88: 807C7CFF 00001000
	s_mul_i32 s60, 4, s7                                       // 000000004A90: 923C0784
	v_add_u32_e32 v254, s60, v254                              // 000000004A94: 69FDFC3C
	s_mov_b64 exec, s[44:45]                                   // 000000004A98: BEFE012C
	buffer_load_dwordx4 v254, s[16:19], 0 idxen lds            // 000000004A9C: E05D2000 800400FE
	s_mov_b64 exec, s[100:101]                                 // 000000004AA4: BEFE0164
	s_add_u32 m0, 0x1000, m0                                   // 000000004AA8: 807C7CFF 00001000
	s_mul_i32 s60, 4, s7                                       // 000000004AB0: 923C0784
	v_add_u32_e32 v254, s60, v254                              // 000000004AB4: 69FDFC3C
	s_mov_b64 exec, s[44:45]                                   // 000000004AB8: BEFE012C
	buffer_load_dwordx4 v254, s[16:19], 0 idxen lds            // 000000004ABC: E05D2000 800400FE
	s_mov_b64 exec, s[100:101]                                 // 000000004AC4: BEFE0164
	s_add_u32 m0, 0x1000, m0                                   // 000000004AC8: 807C7CFF 00001000
	s_mul_i32 s60, 4, s7                                       // 000000004AD0: 923C0784
	v_add_u32_e32 v254, s60, v254                              // 000000004AD4: 69FDFC3C
	s_mov_b64 exec, s[44:45]                                   // 000000004AD8: BEFE012C
	buffer_load_dwordx4 v254, s[16:19], 0 idxen lds            // 000000004ADC: E05D2000 800400FE
	s_mov_b64 exec, s[100:101]                                 // 000000004AE4: BEFE0164
	s_add_u32 m0, 0x1000, m0                                   // 000000004AE8: 807C7CFF 00001000
	s_mul_i32 s60, 4, s7                                       // 000000004AF0: 923C0784
	v_add_u32_e32 v254, s60, v254                              // 000000004AF4: 69FDFC3C
	s_mov_b64 exec, s[44:45]                                   // 000000004AF8: BEFE012C
	buffer_load_dwordx4 v254, s[16:19], 0 idxen lds            // 000000004AFC: E05D2000 800400FE
	s_mov_b64 exec, s[100:101]                                 // 000000004B04: BEFE0164
	s_add_u32 m0, 0x1000, m0                                   // 000000004B08: 807C7CFF 00001000
	s_mul_i32 s60, 4, s7                                       // 000000004B10: 923C0784
	v_add_u32_e32 v254, s60, v254                              // 000000004B14: 69FDFC3C
	s_mov_b64 exec, s[44:45]                                   // 000000004B18: BEFE012C
	buffer_load_dwordx4 v254, s[16:19], 0 idxen lds            // 000000004B1C: E05D2000 800400FE
	s_mov_b64 exec, s[100:101]                                 // 000000004B24: BEFE0164
	s_add_u32 m0, 0x1000, m0                                   // 000000004B28: 807C7CFF 00001000
	s_mul_i32 s60, 4, s7                                       // 000000004B30: 923C0784
	v_add_u32_e32 v254, s60, v254                              // 000000004B34: 69FDFC3C
	s_mov_b64 exec, s[44:45]                                   // 000000004B38: BEFE012C
	buffer_load_dwordx4 v254, s[16:19], 0 idxen lds            // 000000004B3C: E05D2000 800400FE
	s_mov_b64 exec, s[100:101]                                 // 000000004B44: BEFE0164
	s_add_u32 m0, 0x1000, m0                                   // 000000004B48: 807C7CFF 00001000
	s_mul_i32 s60, 4, s7                                       // 000000004B50: 923C0784
	v_add_u32_e32 v254, s60, v254                              // 000000004B54: 69FDFC3C
	s_mov_b64 exec, s[44:45]                                   // 000000004B58: BEFE012C
	buffer_load_dwordx4 v254, s[16:19], 0 idxen lds            // 000000004B5C: E05D2000 800400FE
	s_mov_b64 exec, s[100:101]                                 // 000000004B64: BEFE0164
	s_add_u32 m0, 0x1000, m0                                   // 000000004B68: 807C7CFF 00001000
	s_mul_i32 s60, 4, s7                                       // 000000004B70: 923C0784
	v_add_u32_e32 v254, s60, v254                              // 000000004B74: 69FDFC3C
	s_mov_b64 exec, s[44:45]                                   // 000000004B78: BEFE012C
	buffer_load_dwordx4 v254, s[16:19], 0 idxen lds            // 000000004B7C: E05D2000 800400FE
	s_mov_b64 exec, s[100:101]                                 // 000000004B84: BEFE0164
	s_add_u32 m0, 0x1000, m0                                   // 000000004B88: 807C7CFF 00001000
	s_mul_i32 s60, 4, s7                                       // 000000004B90: 923C0784
	v_add_u32_e32 v254, s60, v254                              // 000000004B94: 69FDFC3C
	s_mov_b64 exec, s[44:45]                                   // 000000004B98: BEFE012C
	buffer_load_dwordx4 v254, s[16:19], 0 idxen lds            // 000000004B9C: E05D2000 800400FE
	s_mov_b64 exec, s[100:101]                                 // 000000004BA4: BEFE0164
	s_add_u32 m0, 0x1000, m0                                   // 000000004BA8: 807C7CFF 00001000
	s_mul_i32 s60, 4, s7                                       // 000000004BB0: 923C0784
	v_add_u32_e32 v254, s60, v254                              // 000000004BB4: 69FDFC3C
	s_mov_b64 exec, s[44:45]                                   // 000000004BB8: BEFE012C
	buffer_load_dwordx4 v254, s[16:19], 0 idxen lds            // 000000004BBC: E05D2000 800400FE
	s_mov_b64 exec, s[100:101]                                 // 000000004BC4: BEFE0164
	s_add_u32 m0, 0x1000, m0                                   // 000000004BC8: 807C7CFF 00001000
	s_mul_i32 s60, 4, s7                                       // 000000004BD0: 923C0784
	v_add_u32_e32 v254, s60, v254                              // 000000004BD4: 69FDFC3C
	s_mov_b64 exec, s[44:45]                                   // 000000004BD8: BEFE012C
	buffer_load_dwordx4 v254, s[16:19], 0 idxen lds            // 000000004BDC: E05D2000 800400FE
	s_mov_b64 exec, s[100:101]                                 // 000000004BE4: BEFE0164
	s_add_u32 m0, 0x1000, m0                                   // 000000004BE8: 807C7CFF 00001000
	s_mul_i32 s60, 4, s7                                       // 000000004BF0: 923C0784
	v_add_u32_e32 v254, s60, v254                              // 000000004BF4: 69FDFC3C
	s_mov_b64 exec, s[44:45]                                   // 000000004BF8: BEFE012C
	buffer_load_dwordx4 v254, s[16:19], 0 idxen lds            // 000000004BFC: E05D2000 800400FE
	s_mov_b64 exec, s[100:101]                                 // 000000004C04: BEFE0164
	s_add_u32 m0, 0x1000, m0                                   // 000000004C08: 807C7CFF 00001000
	s_mul_i32 s60, 4, s7                                       // 000000004C10: 923C0784
	v_add_u32_e32 v254, s60, v254                              // 000000004C14: 69FDFC3C
	s_mov_b64 exec, s[44:45]                                   // 000000004C18: BEFE012C
	buffer_load_dwordx4 v254, s[16:19], 0 idxen lds            // 000000004C1C: E05D2000 800400FE
	s_mov_b64 exec, s[100:101]                                 // 000000004C24: BEFE0164
	s_add_u32 m0, 0x1000, m0                                   // 000000004C28: 807C7CFF 00001000
	s_mul_i32 s60, 4, s7                                       // 000000004C30: 923C0784
	v_add_u32_e32 v254, s60, v254                              // 000000004C34: 69FDFC3C
	s_lshr_b32 s60, s46, 1                                     // 000000004C38: 8F3C812E
	s_mul_i32 s60, s60, 4                                      // 000000004C3C: 923C843C
	s_and_b32 s61, s46, 1                                      // 000000004C40: 863D812E
	s_addk_i32 s61, 0x2                                        // 000000004C44: B73D0002
	s_add_u32 s60, s61, s60                                    // 000000004C48: 803C3C3D
	s_mul_i32 s60, s60, 0x400                                  // 000000004C4C: 923CFF3C 00000400
	v_mov_b32_e32 v20, s60                                     // 000000004C54: 7E28023C
	v_lshlrev_b32_e32 v21, 4, v0                               // 000000004C58: 242A0084
	v_add_u32_e32 v20, v20, v21                                // 000000004C5C: 68282B14
	v_add_u32_e32 v20, 0x10000, v20                            // 000000004C60: 682828FF 00010000
	ds_write_b128 v20, a[0:3]                                  // 000000004C68: DBBE0000 00000014
	ds_write_b128 v20, a[0:3] offset:8192                      // 000000004C70: DBBE2000 00000014
	ds_write_b128 v20, a[0:3] offset:16384                     // 000000004C78: DBBE4000 00000014
	ds_write_b128 v20, a[0:3] offset:24576                     // 000000004C80: DBBE6000 00000014
	ds_write_b128 v20, a[0:3] offset:32768                     // 000000004C88: DBBE8000 00000014
	ds_write_b128 v20, a[0:3] offset:40960                     // 000000004C90: DBBEA000 00000014
	ds_write_b128 v20, a[0:3] offset:49152                     // 000000004C98: DBBEC000 00000014
	ds_write_b128 v20, a[0:3] offset:57344                     // 000000004CA0: DBBEE000 00000014
	s_mul_i32 s60, s46, 0x400                                  // 000000004CA8: 923CFF2E 00000400
	s_add_u32 m0, 0x10000, s60                                 // 000000004CB0: 807C3CFF 00010000
	s_waitcnt vmcnt(12) lgkmcnt(0)                             // 000000004CB8: BF8C007C
	s_barrier                                                  // 000000004CBC: BF8A0000
	ds_read_b128 a[48:51], v14                                 // 000000004CC0: DBFE0000 3000000E
	ds_read_b128 a[52:55], v14 offset:1024                     // 000000004CC8: DBFE0400 3400000E
	ds_read_b128 a[56:59], v14 offset:2048                     // 000000004CD0: DBFE0800 3800000E
	ds_read_b128 a[60:63], v14 offset:3072                     // 000000004CD8: DBFE0C00 3C00000E
	s_waitcnt lgkmcnt(0)                                       // 000000004CE0: BF8CC07F
	s_barrier                                                  // 000000004CE4: BF8A0000
	s_cmp_lt_i32 0, s72                                        // 000000004CE8: BF044880
	s_cbranch_scc1 label_035C                                  // 000000004CEC: BF850020
	v_accvgpr_write_b32 a48, 0                                 // 000000004CF0: D3D94030 18000080
	v_accvgpr_write_b32 a49, 0                                 // 000000004CF8: D3D94031 18000080
	v_accvgpr_write_b32 a50, 0                                 // 000000004D00: D3D94032 18000080
	v_accvgpr_write_b32 a51, 0                                 // 000000004D08: D3D94033 18000080
	v_accvgpr_write_b32 a52, 0                                 // 000000004D10: D3D94034 18000080
	v_accvgpr_write_b32 a53, 0                                 // 000000004D18: D3D94035 18000080
	v_accvgpr_write_b32 a54, 0                                 // 000000004D20: D3D94036 18000080
	v_accvgpr_write_b32 a55, 0                                 // 000000004D28: D3D94037 18000080
	v_accvgpr_write_b32 a56, 0                                 // 000000004D30: D3D94038 18000080
	v_accvgpr_write_b32 a57, 0                                 // 000000004D38: D3D94039 18000080
	v_accvgpr_write_b32 a58, 0                                 // 000000004D40: D3D9403A 18000080
	v_accvgpr_write_b32 a59, 0                                 // 000000004D48: D3D9403B 18000080
	v_accvgpr_write_b32 a60, 0                                 // 000000004D50: D3D9403C 18000080
	v_accvgpr_write_b32 a61, 0                                 // 000000004D58: D3D9403D 18000080
	v_accvgpr_write_b32 a62, 0                                 // 000000004D60: D3D9403E 18000080
	v_accvgpr_write_b32 a63, 0                                 // 000000004D68: D3D9403F 18000080

0000000000004d70 <label_035C>:
	s_mov_b64 exec, s[44:45]                                   // 000000004D70: BEFE012C
	buffer_load_dwordx4 v1, s[12:15], 0 idxen lds              // 000000004D74: E05D2000 80030001
	s_mov_b64 exec, s[100:101]                                 // 000000004D7C: BEFE0164
	s_add_u32 m0, 0x1000, m0                                   // 000000004D80: 807C7CFF 00001000
	s_mul_i32 s60, 4, s6                                       // 000000004D88: 923C0684
	v_add_u32_e32 v1, s60, v1                                  // 000000004D8C: 6802023C
	s_mov_b64 exec, s[44:45]                                   // 000000004D90: BEFE012C
	buffer_load_dwordx4 v1, s[12:15], 0 idxen lds              // 000000004D94: E05D2000 80030001
	s_mov_b64 exec, s[100:101]                                 // 000000004D9C: BEFE0164
	s_add_u32 m0, 0x1000, m0                                   // 000000004DA0: 807C7CFF 00001000
	s_mul_i32 s60, 4, s6                                       // 000000004DA8: 923C0684
	v_add_u32_e32 v1, s60, v1                                  // 000000004DAC: 6802023C
	s_mov_b64 exec, s[44:45]                                   // 000000004DB0: BEFE012C
	buffer_load_dwordx4 v1, s[12:15], 0 idxen lds              // 000000004DB4: E05D2000 80030001
	s_mov_b64 exec, s[100:101]                                 // 000000004DBC: BEFE0164
	s_add_u32 m0, 0x1000, m0                                   // 000000004DC0: 807C7CFF 00001000
	s_mul_i32 s60, 4, s6                                       // 000000004DC8: 923C0684
	v_add_u32_e32 v1, s60, v1                                  // 000000004DCC: 6802023C
	s_mov_b64 exec, s[44:45]                                   // 000000004DD0: BEFE012C
	buffer_load_dwordx4 v1, s[12:15], 0 idxen lds              // 000000004DD4: E05D2000 80030001
	s_mov_b64 exec, s[100:101]                                 // 000000004DDC: BEFE0164
	s_add_u32 m0, 0x1000, m0                                   // 000000004DE0: 807C7CFF 00001000
	s_mul_i32 s60, 4, s6                                       // 000000004DE8: 923C0684
	v_add_u32_e32 v1, s60, v1                                  // 000000004DEC: 6802023C
	s_waitcnt vmcnt(12) lgkmcnt(0)                             // 000000004DF0: BF8C007C
	s_barrier                                                  // 000000004DF4: BF8A0000
	ds_read_b128 a[64:67], v14 offset:16384                    // 000000004DF8: DBFE4000 4000000E
	ds_read_b128 a[68:71], v14 offset:17408                    // 000000004E00: DBFE4400 4400000E
	ds_read_b128 a[72:75], v14 offset:18432                    // 000000004E08: DBFE4800 4800000E
	ds_read_b128 a[76:79], v14 offset:19456                    // 000000004E10: DBFE4C00 4C00000E
	s_waitcnt lgkmcnt(0)                                       // 000000004E18: BF8CC07F
	s_barrier                                                  // 000000004E1C: BF8A0000
	s_cmp_lt_i32 0, s72                                        // 000000004E20: BF044880
	s_cbranch_scc1 label_03AA                                  // 000000004E24: BF850020
	v_accvgpr_write_b32 a64, 0                                 // 000000004E28: D3D94040 18000080
	v_accvgpr_write_b32 a65, 0                                 // 000000004E30: D3D94041 18000080
	v_accvgpr_write_b32 a66, 0                                 // 000000004E38: D3D94042 18000080
	v_accvgpr_write_b32 a67, 0                                 // 000000004E40: D3D94043 18000080
	v_accvgpr_write_b32 a68, 0                                 // 000000004E48: D3D94044 18000080
	v_accvgpr_write_b32 a69, 0                                 // 000000004E50: D3D94045 18000080
	v_accvgpr_write_b32 a70, 0                                 // 000000004E58: D3D94046 18000080
	v_accvgpr_write_b32 a71, 0                                 // 000000004E60: D3D94047 18000080
	v_accvgpr_write_b32 a72, 0                                 // 000000004E68: D3D94048 18000080
	v_accvgpr_write_b32 a73, 0                                 // 000000004E70: D3D94049 18000080
	v_accvgpr_write_b32 a74, 0                                 // 000000004E78: D3D9404A 18000080
	v_accvgpr_write_b32 a75, 0                                 // 000000004E80: D3D9404B 18000080
	v_accvgpr_write_b32 a76, 0                                 // 000000004E88: D3D9404C 18000080
	v_accvgpr_write_b32 a77, 0                                 // 000000004E90: D3D9404D 18000080
	v_accvgpr_write_b32 a78, 0                                 // 000000004E98: D3D9404E 18000080
	v_accvgpr_write_b32 a79, 0                                 // 000000004EA0: D3D9404F 18000080

0000000000004ea8 <label_03AA>:
	s_mov_b64 exec, s[44:45]                                   // 000000004EA8: BEFE012C
	buffer_load_dwordx4 v1, s[12:15], 0 idxen lds              // 000000004EAC: E05D2000 80030001
	s_mov_b64 exec, s[100:101]                                 // 000000004EB4: BEFE0164
	s_add_u32 m0, 0x1000, m0                                   // 000000004EB8: 807C7CFF 00001000
	s_mul_i32 s60, 4, s6                                       // 000000004EC0: 923C0684
	v_add_u32_e32 v1, s60, v1                                  // 000000004EC4: 6802023C
	s_mov_b64 exec, s[44:45]                                   // 000000004EC8: BEFE012C
	buffer_load_dwordx4 v1, s[12:15], 0 idxen lds              // 000000004ECC: E05D2000 80030001
	s_mov_b64 exec, s[100:101]                                 // 000000004ED4: BEFE0164
	s_add_u32 m0, 0x1000, m0                                   // 000000004ED8: 807C7CFF 00001000
	s_mul_i32 s60, 4, s6                                       // 000000004EE0: 923C0684
	v_add_u32_e32 v1, s60, v1                                  // 000000004EE4: 6802023C
	s_mov_b64 exec, s[44:45]                                   // 000000004EE8: BEFE012C
	buffer_load_dwordx4 v1, s[12:15], 0 idxen lds              // 000000004EEC: E05D2000 80030001
	s_mov_b64 exec, s[100:101]                                 // 000000004EF4: BEFE0164
	s_add_u32 m0, 0x1000, m0                                   // 000000004EF8: 807C7CFF 00001000
	s_mul_i32 s60, 4, s6                                       // 000000004F00: 923C0684
	v_add_u32_e32 v1, s60, v1                                  // 000000004F04: 6802023C
	s_mov_b64 exec, s[44:45]                                   // 000000004F08: BEFE012C
	buffer_load_dwordx4 v1, s[12:15], 0 idxen lds              // 000000004F0C: E05D2000 80030001
	s_mov_b64 exec, s[100:101]                                 // 000000004F14: BEFE0164
	s_add_u32 m0, 0x1000, m0                                   // 000000004F18: 807C7CFF 00001000
	s_mul_i32 s60, 4, s6                                       // 000000004F20: 923C0684
	v_add_u32_e32 v1, s60, v1                                  // 000000004F24: 6802023C
	s_waitcnt vmcnt(12) lgkmcnt(0)                             // 000000004F28: BF8C007C
	s_barrier                                                  // 000000004F2C: BF8A0000
	ds_read_b128 a[80:83], v14 offset:32768                    // 000000004F30: DBFE8000 5000000E
	ds_read_b128 a[84:87], v14 offset:33792                    // 000000004F38: DBFE8400 5400000E
	ds_read_b128 a[88:91], v14 offset:34816                    // 000000004F40: DBFE8800 5800000E
	ds_read_b128 a[92:95], v14 offset:35840                    // 000000004F48: DBFE8C00 5C00000E
	s_waitcnt lgkmcnt(0)                                       // 000000004F50: BF8CC07F
	s_barrier                                                  // 000000004F54: BF8A0000
	s_cmp_lt_i32 1, s72                                        // 000000004F58: BF044881
	s_cbranch_scc1 label_03F8                                  // 000000004F5C: BF850020
	v_accvgpr_write_b32 a80, 0                                 // 000000004F60: D3D94050 18000080
	v_accvgpr_write_b32 a81, 0                                 // 000000004F68: D3D94051 18000080
	v_accvgpr_write_b32 a82, 0                                 // 000000004F70: D3D94052 18000080
	v_accvgpr_write_b32 a83, 0                                 // 000000004F78: D3D94053 18000080
	v_accvgpr_write_b32 a84, 0                                 // 000000004F80: D3D94054 18000080
	v_accvgpr_write_b32 a85, 0                                 // 000000004F88: D3D94055 18000080
	v_accvgpr_write_b32 a86, 0                                 // 000000004F90: D3D94056 18000080
	v_accvgpr_write_b32 a87, 0                                 // 000000004F98: D3D94057 18000080
	v_accvgpr_write_b32 a88, 0                                 // 000000004FA0: D3D94058 18000080
	v_accvgpr_write_b32 a89, 0                                 // 000000004FA8: D3D94059 18000080
	v_accvgpr_write_b32 a90, 0                                 // 000000004FB0: D3D9405A 18000080
	v_accvgpr_write_b32 a91, 0                                 // 000000004FB8: D3D9405B 18000080
	v_accvgpr_write_b32 a92, 0                                 // 000000004FC0: D3D9405C 18000080
	v_accvgpr_write_b32 a93, 0                                 // 000000004FC8: D3D9405D 18000080
	v_accvgpr_write_b32 a94, 0                                 // 000000004FD0: D3D9405E 18000080
	v_accvgpr_write_b32 a95, 0                                 // 000000004FD8: D3D9405F 18000080

0000000000004fe0 <label_03F8>:
	s_mov_b64 exec, s[44:45]                                   // 000000004FE0: BEFE012C
	buffer_load_dwordx4 v1, s[12:15], 0 idxen lds              // 000000004FE4: E05D2000 80030001
	s_mov_b64 exec, s[100:101]                                 // 000000004FEC: BEFE0164
	s_add_u32 m0, 0x1000, m0                                   // 000000004FF0: 807C7CFF 00001000
	s_mul_i32 s60, 4, s6                                       // 000000004FF8: 923C0684
	v_add_u32_e32 v1, s60, v1                                  // 000000004FFC: 6802023C
	s_mov_b64 exec, s[44:45]                                   // 000000005000: BEFE012C
	buffer_load_dwordx4 v1, s[12:15], 0 idxen lds              // 000000005004: E05D2000 80030001
	s_mov_b64 exec, s[100:101]                                 // 00000000500C: BEFE0164
	s_add_u32 m0, 0x1000, m0                                   // 000000005010: 807C7CFF 00001000
	s_mul_i32 s60, 4, s6                                       // 000000005018: 923C0684
	v_add_u32_e32 v1, s60, v1                                  // 00000000501C: 6802023C
	s_mov_b64 exec, s[44:45]                                   // 000000005020: BEFE012C
	buffer_load_dwordx4 v1, s[12:15], 0 idxen lds              // 000000005024: E05D2000 80030001
	s_mov_b64 exec, s[100:101]                                 // 00000000502C: BEFE0164
	s_add_u32 m0, 0x1000, m0                                   // 000000005030: 807C7CFF 00001000
	s_mul_i32 s60, 4, s6                                       // 000000005038: 923C0684
	v_add_u32_e32 v1, s60, v1                                  // 00000000503C: 6802023C
	s_mov_b64 exec, s[44:45]                                   // 000000005040: BEFE012C
	buffer_load_dwordx4 v1, s[12:15], 0 idxen lds              // 000000005044: E05D2000 80030001
	s_mov_b64 exec, s[100:101]                                 // 00000000504C: BEFE0164
	s_add_u32 m0, 0x1000, m0                                   // 000000005050: 807C7CFF 00001000
	s_mul_i32 s60, 4, s6                                       // 000000005058: 923C0684
	v_add_u32_e32 v1, s60, v1                                  // 00000000505C: 6802023C
	s_waitcnt vmcnt(12) lgkmcnt(0)                             // 000000005060: BF8C007C
	s_barrier                                                  // 000000005064: BF8A0000
	ds_read_b128 a[96:99], v14 offset:49152                    // 000000005068: DBFEC000 6000000E
	ds_read_b128 a[100:103], v14 offset:50176                  // 000000005070: DBFEC400 6400000E
	ds_read_b128 a[104:107], v14 offset:51200                  // 000000005078: DBFEC800 6800000E
	ds_read_b128 a[108:111], v14 offset:52224                  // 000000005080: DBFECC00 6C00000E
	s_waitcnt lgkmcnt(0)                                       // 000000005088: BF8CC07F
	s_barrier                                                  // 00000000508C: BF8A0000
	s_cmp_lt_i32 1, s72                                        // 000000005090: BF044881
	s_cbranch_scc1 label_0446                                  // 000000005094: BF850020
	v_accvgpr_write_b32 a96, 0                                 // 000000005098: D3D94060 18000080
	v_accvgpr_write_b32 a97, 0                                 // 0000000050A0: D3D94061 18000080
	v_accvgpr_write_b32 a98, 0                                 // 0000000050A8: D3D94062 18000080
	v_accvgpr_write_b32 a99, 0                                 // 0000000050B0: D3D94063 18000080
	v_accvgpr_write_b32 a100, 0                                // 0000000050B8: D3D94064 18000080
	v_accvgpr_write_b32 a101, 0                                // 0000000050C0: D3D94065 18000080
	v_accvgpr_write_b32 a102, 0                                // 0000000050C8: D3D94066 18000080
	v_accvgpr_write_b32 a103, 0                                // 0000000050D0: D3D94067 18000080
	v_accvgpr_write_b32 a104, 0                                // 0000000050D8: D3D94068 18000080
	v_accvgpr_write_b32 a105, 0                                // 0000000050E0: D3D94069 18000080
	v_accvgpr_write_b32 a106, 0                                // 0000000050E8: D3D9406A 18000080
	v_accvgpr_write_b32 a107, 0                                // 0000000050F0: D3D9406B 18000080
	v_accvgpr_write_b32 a108, 0                                // 0000000050F8: D3D9406C 18000080
	v_accvgpr_write_b32 a109, 0                                // 000000005100: D3D9406D 18000080
	v_accvgpr_write_b32 a110, 0                                // 000000005108: D3D9406E 18000080
	v_accvgpr_write_b32 a111, 0                                // 000000005110: D3D9406F 18000080

0000000000005118 <label_0446>:
	s_mov_b64 exec, s[44:45]                                   // 000000005118: BEFE012C
	buffer_load_dwordx4 v1, s[12:15], 0 idxen lds              // 00000000511C: E05D2000 80030001
	s_mov_b64 exec, s[100:101]                                 // 000000005124: BEFE0164
	s_add_u32 m0, 0x1000, m0                                   // 000000005128: 807C7CFF 00001000
	s_mul_i32 s60, 4, s6                                       // 000000005130: 923C0684
	v_add_u32_e32 v1, s60, v1                                  // 000000005134: 6802023C
	s_mov_b64 exec, s[44:45]                                   // 000000005138: BEFE012C
	buffer_load_dwordx4 v1, s[12:15], 0 idxen lds              // 00000000513C: E05D2000 80030001
	s_mov_b64 exec, s[100:101]                                 // 000000005144: BEFE0164
	s_add_u32 m0, 0x1000, m0                                   // 000000005148: 807C7CFF 00001000
	s_mul_i32 s60, 4, s6                                       // 000000005150: 923C0684
	v_add_u32_e32 v1, s60, v1                                  // 000000005154: 6802023C
	s_mov_b64 exec, s[44:45]                                   // 000000005158: BEFE012C
	buffer_load_dwordx4 v1, s[12:15], 0 idxen lds              // 00000000515C: E05D2000 80030001
	s_mov_b64 exec, s[100:101]                                 // 000000005164: BEFE0164
	s_add_u32 m0, 0x1000, m0                                   // 000000005168: 807C7CFF 00001000
	s_mul_i32 s60, 4, s6                                       // 000000005170: 923C0684
	v_add_u32_e32 v1, s60, v1                                  // 000000005174: 6802023C
	s_mov_b64 exec, s[44:45]                                   // 000000005178: BEFE012C
	buffer_load_dwordx4 v1, s[12:15], 0 idxen lds              // 00000000517C: E05D2000 80030001
	s_mov_b64 exec, s[100:101]                                 // 000000005184: BEFE0164
	s_add_u32 m0, 0x1000, m0                                   // 000000005188: 807C7CFF 00001000
	s_mul_i32 s60, 4, s6                                       // 000000005190: 923C0684
	v_add_u32_e32 v1, s60, v1                                  // 000000005194: 6802023C
	v_add_u32_e32 v14, 0x10000, v14                            // 000000005198: 681C1CFF 00010000
	v_add_u32_e32 v15, 0x10000, v15                            // 0000000051A0: 681E1EFF 00010000
	v_add_u32_e32 v16, 0x10000, v16                            // 0000000051A8: 682020FF 00010000
	s_mov_b32 s71, s5                                          // 0000000051B0: BEC70005
	v_and_b32_e32 v20, 3, v0                                   // 0000000051B4: 26280083
	v_and_b32_e32 v21, 1, v20                                  // 0000000051B8: 262A2881
	v_lshrrev_b32_e32 v22, 1, v20                              // 0000000051BC: 202C2881
	v_lshrrev_b32_e32 v20, 5, v0                               // 0000000051C0: 20280085
	v_xor_b32_e32 v22, v22, v20                                // 0000000051C4: 2A2C2916
	v_lshlrev_b32_e32 v22, 1, v22                              // 0000000051C8: 242C2C81
	v_add_u32_e32 v21, v22, v21                                // 0000000051CC: 682A2B16
	v_lshlrev_b32_e32 v21, 4, v21                              // 0000000051D0: 242A2A84
	v_lshrrev_b32_e32 v20, 2, v0                               // 0000000051D4: 20280082
	v_mul_i32_i24_e32 v20, s71, v20                            // 0000000051D8: 0C282847
	v_add_u32_e32 v1, v20, v21                                 // 0000000051DC: 68022B14
	s_mul_i32 s60, s46, 64                                     // 0000000051E0: 923CC02E
	v_add_u32_e32 v1, s60, v1                                  // 0000000051E4: 6802023C
	s_mul_i32 s60, s5, s59                                     // 0000000051E8: 923C3B05
	v_add_u32_e32 v1, s60, v1                                  // 0000000051EC: 6802023C
	s_mov_b32 s71, s51                                         // 0000000051F0: BEC70033
	v_and_b32_e32 v20, 3, v0                                   // 0000000051F4: 26280083
	v_and_b32_e32 v21, 1, v20                                  // 0000000051F8: 262A2881
	v_lshrrev_b32_e32 v22, 1, v20                              // 0000000051FC: 202C2881
	v_lshrrev_b32_e32 v20, 5, v0                               // 000000005200: 20280085
	v_xor_b32_e32 v22, v22, v20                                // 000000005204: 2A2C2916
	v_lshlrev_b32_e32 v22, 1, v22                              // 000000005208: 242C2C81
	v_add_u32_e32 v21, v22, v21                                // 00000000520C: 682A2B16
	v_lshlrev_b32_e32 v21, 4, v21                              // 000000005210: 242A2A84
	v_lshrrev_b32_e32 v20, 2, v0                               // 000000005214: 20280082
	v_mul_i32_i24_e32 v20, s71, v20                            // 000000005218: 0C282847
	v_add_u32_e32 v254, v20, v21                               // 00000000521C: 69FC2B14
	s_mul_i32 s60, s46, 64                                     // 000000005220: 923CC02E
	v_add_u32_e32 v254, s60, v254                              // 000000005224: 69FDFC3C
	s_mul_i32 s60, s51, s59                                    // 000000005228: 923C3B33
	v_add_u32_e32 v254, s60, v254                              // 00000000522C: 69FDFC3C
	v_lshrrev_b32_e32 v1, 2, v1                                // 000000005230: 20020282
	v_lshrrev_b32_e32 v254, 2, v254                            // 000000005234: 21FDFC82
	s_mov_b32 m0, s82                                          // 000000005238: BEFC0052
	buffer_load_dwordx4 v1, s[8:11], 0 idxen lds               // 00000000523C: E05D2000 80020001
	s_mov_b32 m0, s86                                          // 000000005244: BEFC0056
	buffer_load_dwordx4 v254, s[20:23], 0 idxen lds            // 000000005248: E05D2000 800500FE
	s_mov_b32 m0, s78                                          // 000000005250: BEFC004E
	buffer_load_dword v8, s[24:27], 0 idxen lds                // 000000005254: E0512000 80060008
	v_add_u32_e32 v1, s68, v1                                  // 00000000525C: 68020244
	v_add_u32_e32 v254, s98, v254                              // 000000005260: 69FDFC62
	v_add_u32_e32 v8, s69, v8                                  // 000000005264: 68101045
	s_mov_b32 m0, s83                                          // 000000005268: BEFC0053
	buffer_load_dwordx4 v1, s[8:11], 0 idxen lds               // 00000000526C: E05D2000 80020001
	s_mov_b32 m0, s87                                          // 000000005274: BEFC0057
	buffer_load_dwordx4 v254, s[20:23], 0 idxen lds            // 000000005278: E05D2000 800500FE
	s_mov_b32 m0, s79                                          // 000000005280: BEFC004F
	buffer_load_dword v8, s[24:27], 0 idxen lds                // 000000005284: E0512000 80060008
	v_add_u32_e32 v1, s68, v1                                  // 00000000528C: 68020244
	v_add_u32_e32 v254, s98, v254                              // 000000005290: 69FDFC62
	v_add_u32_e32 v8, s69, v8                                  // 000000005294: 68101045
	s_waitcnt vmcnt(3) lgkmcnt(0)                              // 000000005298: BF8C0073
	s_barrier                                                  // 00000000529C: BF8A0000
	ds_read_b128 a[112:115], v9                                // 0000000052A0: DBFE0000 70000009
	ds_read_b128 a[116:119], v9 offset:1024                    // 0000000052A8: DBFE0400 74000009
	ds_read_b128 a[120:123], v9 offset:2048                    // 0000000052B0: DBFE0800 78000009
	ds_read_b128 a[124:127], v9 offset:3072                    // 0000000052B8: DBFE0C00 7C000009
	ds_read_b32 v104, v13 offset:41984                         // 0000000052C0: D86CA400 6800000D
	ds_read_b32 v124, v13 offset:42240                         // 0000000052C8: D86CA500 7C00000D
	ds_read_b128 a[0:3], v14                                   // 0000000052D0: DBFE0000 0000000E
	ds_read_b128 a[4:7], v14 offset:1024                       // 0000000052D8: DBFE0400 0400000E
	ds_read_b128 a[8:11], v14 offset:2048                      // 0000000052E0: DBFE0800 0800000E
	ds_read_b128 a[12:15], v14 offset:3072                     // 0000000052E8: DBFE0C00 0C00000E
	ds_read_b128 a[16:19], v14 offset:16384                    // 0000000052F0: DBFE4000 1000000E
	ds_read_b128 a[20:23], v14 offset:17408                    // 0000000052F8: DBFE4400 1400000E
	ds_read_b128 a[24:27], v14 offset:18432                    // 000000005300: DBFE4800 1800000E
	ds_read_b128 a[28:31], v14 offset:19456                    // 000000005308: DBFE4C00 1C00000E
	v_accvgpr_write_b32 a128, 0                                // 000000005310: D3D94080 18000080
	v_mov_b32_e32 v126, 0                                      // 000000005318: 7EFC0280
	v_accvgpr_write_b32 a129, 0                                // 00000000531C: D3D94081 18000080
	v_mov_b32_e32 v127, 0                                      // 000000005324: 7EFE0280
	v_accvgpr_write_b32 a130, 0                                // 000000005328: D3D94082 18000080
	v_mov_b32_e32 v128, 0                                      // 000000005330: 7F000280
	v_accvgpr_write_b32 a131, 0                                // 000000005334: D3D94083 18000080
	v_mov_b32_e32 v129, 0                                      // 00000000533C: 7F020280
	v_accvgpr_write_b32 a132, 0                                // 000000005340: D3D94084 18000080
	v_mov_b32_e32 v130, 0                                      // 000000005348: 7F040280
	v_accvgpr_write_b32 a133, 0                                // 00000000534C: D3D94085 18000080
	v_mov_b32_e32 v131, 0                                      // 000000005354: 7F060280
	v_accvgpr_write_b32 a134, 0                                // 000000005358: D3D94086 18000080
	v_mov_b32_e32 v132, 0                                      // 000000005360: 7F080280
	v_accvgpr_write_b32 a135, 0                                // 000000005364: D3D94087 18000080
	v_mov_b32_e32 v133, 0                                      // 00000000536C: 7F0A0280
	v_accvgpr_write_b32 a136, 0                                // 000000005370: D3D94088 18000080
	v_mov_b32_e32 v134, 0                                      // 000000005378: 7F0C0280
	v_accvgpr_write_b32 a137, 0                                // 00000000537C: D3D94089 18000080
	v_mov_b32_e32 v135, 0                                      // 000000005384: 7F0E0280
	v_accvgpr_write_b32 a138, 0                                // 000000005388: D3D9408A 18000080
	v_mov_b32_e32 v136, 0                                      // 000000005390: 7F100280
	v_accvgpr_write_b32 a139, 0                                // 000000005394: D3D9408B 18000080
	v_mov_b32_e32 v137, 0                                      // 00000000539C: 7F120280
	v_accvgpr_write_b32 a140, 0                                // 0000000053A0: D3D9408C 18000080
	v_mov_b32_e32 v138, 0                                      // 0000000053A8: 7F140280
	v_accvgpr_write_b32 a141, 0                                // 0000000053AC: D3D9408D 18000080
	v_mov_b32_e32 v139, 0                                      // 0000000053B4: 7F160280
	v_accvgpr_write_b32 a142, 0                                // 0000000053B8: D3D9408E 18000080
	v_mov_b32_e32 v140, 0                                      // 0000000053C0: 7F180280
	v_accvgpr_write_b32 a143, 0                                // 0000000053C4: D3D9408F 18000080
	v_mov_b32_e32 v141, 0                                      // 0000000053CC: 7F1A0280
	v_accvgpr_write_b32 a144, 0                                // 0000000053D0: D3D94090 18000080
	v_mov_b32_e32 v142, 0                                      // 0000000053D8: 7F1C0280
	v_accvgpr_write_b32 a145, 0                                // 0000000053DC: D3D94091 18000080
	v_mov_b32_e32 v143, 0                                      // 0000000053E4: 7F1E0280
	v_accvgpr_write_b32 a146, 0                                // 0000000053E8: D3D94092 18000080
	v_mov_b32_e32 v144, 0                                      // 0000000053F0: 7F200280
	v_accvgpr_write_b32 a147, 0                                // 0000000053F4: D3D94093 18000080
	v_mov_b32_e32 v145, 0                                      // 0000000053FC: 7F220280
	v_accvgpr_write_b32 a148, 0                                // 000000005400: D3D94094 18000080
	v_mov_b32_e32 v146, 0                                      // 000000005408: 7F240280
	v_accvgpr_write_b32 a149, 0                                // 00000000540C: D3D94095 18000080
	v_mov_b32_e32 v147, 0                                      // 000000005414: 7F260280
	v_accvgpr_write_b32 a150, 0                                // 000000005418: D3D94096 18000080
	v_mov_b32_e32 v148, 0                                      // 000000005420: 7F280280
	v_accvgpr_write_b32 a151, 0                                // 000000005424: D3D94097 18000080
	v_mov_b32_e32 v149, 0                                      // 00000000542C: 7F2A0280
	v_accvgpr_write_b32 a152, 0                                // 000000005430: D3D94098 18000080
	v_mov_b32_e32 v150, 0                                      // 000000005438: 7F2C0280
	v_accvgpr_write_b32 a153, 0                                // 00000000543C: D3D94099 18000080
	v_mov_b32_e32 v151, 0                                      // 000000005444: 7F2E0280
	v_accvgpr_write_b32 a154, 0                                // 000000005448: D3D9409A 18000080
	v_mov_b32_e32 v152, 0                                      // 000000005450: 7F300280
	v_accvgpr_write_b32 a155, 0                                // 000000005454: D3D9409B 18000080
	v_mov_b32_e32 v153, 0                                      // 00000000545C: 7F320280
	v_accvgpr_write_b32 a156, 0                                // 000000005460: D3D9409C 18000080
	v_mov_b32_e32 v154, 0                                      // 000000005468: 7F340280
	v_accvgpr_write_b32 a157, 0                                // 00000000546C: D3D9409D 18000080
	v_mov_b32_e32 v155, 0                                      // 000000005474: 7F360280
	v_accvgpr_write_b32 a158, 0                                // 000000005478: D3D9409E 18000080
	v_mov_b32_e32 v156, 0                                      // 000000005480: 7F380280
	v_accvgpr_write_b32 a159, 0                                // 000000005484: D3D9409F 18000080
	v_mov_b32_e32 v157, 0                                      // 00000000548C: 7F3A0280
	v_accvgpr_write_b32 a160, 0                                // 000000005490: D3D940A0 18000080
	v_mov_b32_e32 v158, 0                                      // 000000005498: 7F3C0280
	v_accvgpr_write_b32 a161, 0                                // 00000000549C: D3D940A1 18000080
	v_mov_b32_e32 v159, 0                                      // 0000000054A4: 7F3E0280
	v_accvgpr_write_b32 a162, 0                                // 0000000054A8: D3D940A2 18000080
	v_mov_b32_e32 v160, 0                                      // 0000000054B0: 7F400280
	v_accvgpr_write_b32 a163, 0                                // 0000000054B4: D3D940A3 18000080
	v_mov_b32_e32 v161, 0                                      // 0000000054BC: 7F420280
	v_accvgpr_write_b32 a164, 0                                // 0000000054C0: D3D940A4 18000080
	v_mov_b32_e32 v162, 0                                      // 0000000054C8: 7F440280
	v_accvgpr_write_b32 a165, 0                                // 0000000054CC: D3D940A5 18000080
	v_mov_b32_e32 v163, 0                                      // 0000000054D4: 7F460280
	v_accvgpr_write_b32 a166, 0                                // 0000000054D8: D3D940A6 18000080
	v_mov_b32_e32 v164, 0                                      // 0000000054E0: 7F480280
	v_accvgpr_write_b32 a167, 0                                // 0000000054E4: D3D940A7 18000080
	v_mov_b32_e32 v165, 0                                      // 0000000054EC: 7F4A0280
	v_accvgpr_write_b32 a168, 0                                // 0000000054F0: D3D940A8 18000080
	v_mov_b32_e32 v166, 0                                      // 0000000054F8: 7F4C0280
	v_accvgpr_write_b32 a169, 0                                // 0000000054FC: D3D940A9 18000080
	v_mov_b32_e32 v167, 0                                      // 000000005504: 7F4E0280
	v_accvgpr_write_b32 a170, 0                                // 000000005508: D3D940AA 18000080
	v_mov_b32_e32 v168, 0                                      // 000000005510: 7F500280
	v_accvgpr_write_b32 a171, 0                                // 000000005514: D3D940AB 18000080
	v_mov_b32_e32 v169, 0                                      // 00000000551C: 7F520280
	v_accvgpr_write_b32 a172, 0                                // 000000005520: D3D940AC 18000080
	v_mov_b32_e32 v170, 0                                      // 000000005528: 7F540280
	v_accvgpr_write_b32 a173, 0                                // 00000000552C: D3D940AD 18000080
	v_mov_b32_e32 v171, 0                                      // 000000005534: 7F560280
	v_accvgpr_write_b32 a174, 0                                // 000000005538: D3D940AE 18000080
	v_mov_b32_e32 v172, 0                                      // 000000005540: 7F580280
	v_accvgpr_write_b32 a175, 0                                // 000000005544: D3D940AF 18000080
	v_mov_b32_e32 v173, 0                                      // 00000000554C: 7F5A0280
	v_accvgpr_write_b32 a176, 0                                // 000000005550: D3D940B0 18000080
	v_mov_b32_e32 v174, 0                                      // 000000005558: 7F5C0280
	v_accvgpr_write_b32 a177, 0                                // 00000000555C: D3D940B1 18000080
	v_mov_b32_e32 v175, 0                                      // 000000005564: 7F5E0280
	v_accvgpr_write_b32 a178, 0                                // 000000005568: D3D940B2 18000080
	v_mov_b32_e32 v176, 0                                      // 000000005570: 7F600280
	v_accvgpr_write_b32 a179, 0                                // 000000005574: D3D940B3 18000080
	v_mov_b32_e32 v177, 0                                      // 00000000557C: 7F620280
	v_accvgpr_write_b32 a180, 0                                // 000000005580: D3D940B4 18000080
	v_mov_b32_e32 v178, 0                                      // 000000005588: 7F640280
	v_accvgpr_write_b32 a181, 0                                // 00000000558C: D3D940B5 18000080
	v_mov_b32_e32 v179, 0                                      // 000000005594: 7F660280
	v_accvgpr_write_b32 a182, 0                                // 000000005598: D3D940B6 18000080
	v_mov_b32_e32 v180, 0                                      // 0000000055A0: 7F680280
	v_accvgpr_write_b32 a183, 0                                // 0000000055A4: D3D940B7 18000080
	v_mov_b32_e32 v181, 0                                      // 0000000055AC: 7F6A0280
	v_accvgpr_write_b32 a184, 0                                // 0000000055B0: D3D940B8 18000080
	v_mov_b32_e32 v182, 0                                      // 0000000055B8: 7F6C0280
	v_accvgpr_write_b32 a185, 0                                // 0000000055BC: D3D940B9 18000080
	v_mov_b32_e32 v183, 0                                      // 0000000055C4: 7F6E0280
	v_accvgpr_write_b32 a186, 0                                // 0000000055C8: D3D940BA 18000080
	v_mov_b32_e32 v184, 0                                      // 0000000055D0: 7F700280
	v_accvgpr_write_b32 a187, 0                                // 0000000055D4: D3D940BB 18000080
	v_mov_b32_e32 v185, 0                                      // 0000000055DC: 7F720280
	v_accvgpr_write_b32 a188, 0                                // 0000000055E0: D3D940BC 18000080
	v_mov_b32_e32 v186, 0                                      // 0000000055E8: 7F740280
	v_accvgpr_write_b32 a189, 0                                // 0000000055EC: D3D940BD 18000080
	v_mov_b32_e32 v187, 0                                      // 0000000055F4: 7F760280
	v_accvgpr_write_b32 a190, 0                                // 0000000055F8: D3D940BE 18000080
	v_mov_b32_e32 v188, 0                                      // 000000005600: 7F780280
	v_accvgpr_write_b32 a191, 0                                // 000000005604: D3D940BF 18000080
	v_mov_b32_e32 v189, 0                                      // 00000000560C: 7F7A0280
	v_accvgpr_write_b32 a192, 0                                // 000000005610: D3D940C0 18000080
	v_mov_b32_e32 v190, 0                                      // 000000005618: 7F7C0280
	v_accvgpr_write_b32 a193, 0                                // 00000000561C: D3D940C1 18000080
	v_mov_b32_e32 v191, 0                                      // 000000005624: 7F7E0280
	v_accvgpr_write_b32 a194, 0                                // 000000005628: D3D940C2 18000080
	v_mov_b32_e32 v192, 0                                      // 000000005630: 7F800280
	v_accvgpr_write_b32 a195, 0                                // 000000005634: D3D940C3 18000080
	v_mov_b32_e32 v193, 0                                      // 00000000563C: 7F820280
	v_accvgpr_write_b32 a196, 0                                // 000000005640: D3D940C4 18000080
	v_mov_b32_e32 v194, 0                                      // 000000005648: 7F840280
	v_accvgpr_write_b32 a197, 0                                // 00000000564C: D3D940C5 18000080
	v_mov_b32_e32 v195, 0                                      // 000000005654: 7F860280
	v_accvgpr_write_b32 a198, 0                                // 000000005658: D3D940C6 18000080
	v_mov_b32_e32 v196, 0                                      // 000000005660: 7F880280
	v_accvgpr_write_b32 a199, 0                                // 000000005664: D3D940C7 18000080
	v_mov_b32_e32 v197, 0                                      // 00000000566C: 7F8A0280
	v_accvgpr_write_b32 a200, 0                                // 000000005670: D3D940C8 18000080
	v_mov_b32_e32 v198, 0                                      // 000000005678: 7F8C0280
	v_accvgpr_write_b32 a201, 0                                // 00000000567C: D3D940C9 18000080
	v_mov_b32_e32 v199, 0                                      // 000000005684: 7F8E0280
	v_accvgpr_write_b32 a202, 0                                // 000000005688: D3D940CA 18000080
	v_mov_b32_e32 v200, 0                                      // 000000005690: 7F900280
	v_accvgpr_write_b32 a203, 0                                // 000000005694: D3D940CB 18000080
	v_mov_b32_e32 v201, 0                                      // 00000000569C: 7F920280
	v_accvgpr_write_b32 a204, 0                                // 0000000056A0: D3D940CC 18000080
	v_mov_b32_e32 v202, 0                                      // 0000000056A8: 7F940280
	v_accvgpr_write_b32 a205, 0                                // 0000000056AC: D3D940CD 18000080
	v_mov_b32_e32 v203, 0                                      // 0000000056B4: 7F960280
	v_accvgpr_write_b32 a206, 0                                // 0000000056B8: D3D940CE 18000080
	v_mov_b32_e32 v204, 0                                      // 0000000056C0: 7F980280
	v_accvgpr_write_b32 a207, 0                                // 0000000056C4: D3D940CF 18000080
	v_mov_b32_e32 v205, 0                                      // 0000000056CC: 7F9A0280
	v_accvgpr_write_b32 a208, 0                                // 0000000056D0: D3D940D0 18000080
	v_mov_b32_e32 v206, 0                                      // 0000000056D8: 7F9C0280
	v_accvgpr_write_b32 a209, 0                                // 0000000056DC: D3D940D1 18000080
	v_mov_b32_e32 v207, 0                                      // 0000000056E4: 7F9E0280
	v_accvgpr_write_b32 a210, 0                                // 0000000056E8: D3D940D2 18000080
	v_mov_b32_e32 v208, 0                                      // 0000000056F0: 7FA00280
	v_accvgpr_write_b32 a211, 0                                // 0000000056F4: D3D940D3 18000080
	v_mov_b32_e32 v209, 0                                      // 0000000056FC: 7FA20280
	v_accvgpr_write_b32 a212, 0                                // 000000005700: D3D940D4 18000080
	v_mov_b32_e32 v210, 0                                      // 000000005708: 7FA40280
	v_accvgpr_write_b32 a213, 0                                // 00000000570C: D3D940D5 18000080
	v_mov_b32_e32 v211, 0                                      // 000000005714: 7FA60280
	v_accvgpr_write_b32 a214, 0                                // 000000005718: D3D940D6 18000080
	v_mov_b32_e32 v212, 0                                      // 000000005720: 7FA80280
	v_accvgpr_write_b32 a215, 0                                // 000000005724: D3D940D7 18000080
	v_mov_b32_e32 v213, 0                                      // 00000000572C: 7FAA0280
	v_accvgpr_write_b32 a216, 0                                // 000000005730: D3D940D8 18000080
	v_mov_b32_e32 v214, 0                                      // 000000005738: 7FAC0280
	v_accvgpr_write_b32 a217, 0                                // 00000000573C: D3D940D9 18000080
	v_mov_b32_e32 v215, 0                                      // 000000005744: 7FAE0280
	v_accvgpr_write_b32 a218, 0                                // 000000005748: D3D940DA 18000080
	v_mov_b32_e32 v216, 0                                      // 000000005750: 7FB00280
	v_accvgpr_write_b32 a219, 0                                // 000000005754: D3D940DB 18000080
	v_mov_b32_e32 v217, 0                                      // 00000000575C: 7FB20280
	v_accvgpr_write_b32 a220, 0                                // 000000005760: D3D940DC 18000080
	v_mov_b32_e32 v218, 0                                      // 000000005768: 7FB40280
	v_accvgpr_write_b32 a221, 0                                // 00000000576C: D3D940DD 18000080
	v_mov_b32_e32 v219, 0                                      // 000000005774: 7FB60280
	v_accvgpr_write_b32 a222, 0                                // 000000005778: D3D940DE 18000080
	v_mov_b32_e32 v220, 0                                      // 000000005780: 7FB80280
	v_accvgpr_write_b32 a223, 0                                // 000000005784: D3D940DF 18000080
	v_mov_b32_e32 v221, 0                                      // 00000000578C: 7FBA0280
	v_accvgpr_write_b32 a224, 0                                // 000000005790: D3D940E0 18000080
	v_mov_b32_e32 v222, 0                                      // 000000005798: 7FBC0280
	v_accvgpr_write_b32 a225, 0                                // 00000000579C: D3D940E1 18000080
	v_mov_b32_e32 v223, 0                                      // 0000000057A4: 7FBE0280
	v_accvgpr_write_b32 a226, 0                                // 0000000057A8: D3D940E2 18000080
	v_mov_b32_e32 v224, 0                                      // 0000000057B0: 7FC00280
	v_accvgpr_write_b32 a227, 0                                // 0000000057B4: D3D940E3 18000080
	v_mov_b32_e32 v225, 0                                      // 0000000057BC: 7FC20280
	v_accvgpr_write_b32 a228, 0                                // 0000000057C0: D3D940E4 18000080
	v_mov_b32_e32 v226, 0                                      // 0000000057C8: 7FC40280
	v_accvgpr_write_b32 a229, 0                                // 0000000057CC: D3D940E5 18000080
	v_mov_b32_e32 v227, 0                                      // 0000000057D4: 7FC60280
	v_accvgpr_write_b32 a230, 0                                // 0000000057D8: D3D940E6 18000080
	v_mov_b32_e32 v228, 0                                      // 0000000057E0: 7FC80280
	v_accvgpr_write_b32 a231, 0                                // 0000000057E4: D3D940E7 18000080
	v_mov_b32_e32 v229, 0                                      // 0000000057EC: 7FCA0280
	v_accvgpr_write_b32 a232, 0                                // 0000000057F0: D3D940E8 18000080
	v_mov_b32_e32 v230, 0                                      // 0000000057F8: 7FCC0280
	v_accvgpr_write_b32 a233, 0                                // 0000000057FC: D3D940E9 18000080
	v_mov_b32_e32 v231, 0                                      // 000000005804: 7FCE0280
	v_accvgpr_write_b32 a234, 0                                // 000000005808: D3D940EA 18000080
	v_mov_b32_e32 v232, 0                                      // 000000005810: 7FD00280
	v_accvgpr_write_b32 a235, 0                                // 000000005814: D3D940EB 18000080
	v_mov_b32_e32 v233, 0                                      // 00000000581C: 7FD20280
	v_accvgpr_write_b32 a236, 0                                // 000000005820: D3D940EC 18000080
	v_mov_b32_e32 v234, 0                                      // 000000005828: 7FD40280
	v_accvgpr_write_b32 a237, 0                                // 00000000582C: D3D940ED 18000080
	v_mov_b32_e32 v235, 0                                      // 000000005834: 7FD60280
	v_accvgpr_write_b32 a238, 0                                // 000000005838: D3D940EE 18000080
	v_mov_b32_e32 v236, 0                                      // 000000005840: 7FD80280
	v_accvgpr_write_b32 a239, 0                                // 000000005844: D3D940EF 18000080
	v_mov_b32_e32 v237, 0                                      // 00000000584C: 7FDA0280
	v_accvgpr_write_b32 a240, 0                                // 000000005850: D3D940F0 18000080
	v_mov_b32_e32 v238, 0                                      // 000000005858: 7FDC0280
	v_accvgpr_write_b32 a241, 0                                // 00000000585C: D3D940F1 18000080
	v_mov_b32_e32 v239, 0                                      // 000000005864: 7FDE0280
	v_accvgpr_write_b32 a242, 0                                // 000000005868: D3D940F2 18000080
	v_mov_b32_e32 v240, 0                                      // 000000005870: 7FE00280
	v_accvgpr_write_b32 a243, 0                                // 000000005874: D3D940F3 18000080
	v_mov_b32_e32 v241, 0                                      // 00000000587C: 7FE20280
	v_accvgpr_write_b32 a244, 0                                // 000000005880: D3D940F4 18000080
	v_mov_b32_e32 v242, 0                                      // 000000005888: 7FE40280
	v_accvgpr_write_b32 a245, 0                                // 00000000588C: D3D940F5 18000080
	v_mov_b32_e32 v243, 0                                      // 000000005894: 7FE60280
	v_accvgpr_write_b32 a246, 0                                // 000000005898: D3D940F6 18000080
	v_mov_b32_e32 v244, 0                                      // 0000000058A0: 7FE80280
	v_accvgpr_write_b32 a247, 0                                // 0000000058A4: D3D940F7 18000080
	v_mov_b32_e32 v245, 0                                      // 0000000058AC: 7FEA0280
	v_accvgpr_write_b32 a248, 0                                // 0000000058B0: D3D940F8 18000080
	v_mov_b32_e32 v246, 0                                      // 0000000058B8: 7FEC0280
	v_accvgpr_write_b32 a249, 0                                // 0000000058BC: D3D940F9 18000080
	v_mov_b32_e32 v247, 0                                      // 0000000058C4: 7FEE0280
	v_accvgpr_write_b32 a250, 0                                // 0000000058C8: D3D940FA 18000080
	v_mov_b32_e32 v248, 0                                      // 0000000058D0: 7FF00280
	v_accvgpr_write_b32 a251, 0                                // 0000000058D4: D3D940FB 18000080
	v_mov_b32_e32 v249, 0                                      // 0000000058DC: 7FF20280
	v_accvgpr_write_b32 a252, 0                                // 0000000058E0: D3D940FC 18000080
	v_mov_b32_e32 v250, 0                                      // 0000000058E8: 7FF40280
	v_accvgpr_write_b32 a253, 0                                // 0000000058EC: D3D940FD 18000080
	v_mov_b32_e32 v251, 0                                      // 0000000058F4: 7FF60280
	v_accvgpr_write_b32 a254, 0                                // 0000000058F8: D3D940FE 18000080
	v_mov_b32_e32 v252, 0                                      // 000000005900: 7FF80280
	v_accvgpr_write_b32 a255, 0                                // 000000005904: D3D940FF 18000080
	v_mov_b32_e32 v253, 0                                      // 00000000590C: 7FFA0280
	v_mov_b32_e32 v108, 0                                      // 000000005910: 7ED80280
	v_mov_b32_e32 v109, 0                                      // 000000005914: 7EDA0280
	v_mov_b32_e32 v110, 0                                      // 000000005918: 7EDC0280
	v_mov_b32_e32 v111, 0                                      // 00000000591C: 7EDE0280
	v_mov_b32_e32 v112, 0                                      // 000000005920: 7EE00280
	v_mov_b32_e32 v113, 0                                      // 000000005924: 7EE20280
	v_mov_b32_e32 v114, 0                                      // 000000005928: 7EE40280
	v_mov_b32_e32 v115, 0                                      // 00000000592C: 7EE60280
	s_waitcnt vmcnt(0) lgkmcnt(0)                              // 000000005930: BF8C0070
	s_barrier                                                  // 000000005934: BF8A0000
	s_mov_b32 m0, s84                                          // 000000005938: BEFC0054
	buffer_load_dwordx4 v1, s[8:11], 0 idxen lds               // 00000000593C: E05D2000 80020001
	s_mov_b32 m0, s88                                          // 000000005944: BEFC0058
	buffer_load_dwordx4 v254, s[20:23], 0 idxen lds            // 000000005948: E05D2000 800500FE
	s_mov_b32 m0, s80                                          // 000000005950: BEFC0050
	buffer_load_dword v8, s[24:27], 0 idxen lds                // 000000005954: E0512000 80060008
	v_mul_f32_e32 v104, s48, v104                              // 00000000595C: 0AD0D030
	v_add_u32_e32 v1, s68, v1                                  // 000000005960: 68020244
	v_add_u32_e32 v254, s98, v254                              // 000000005964: 69FDFC62
	v_add_u32_e32 v8, s69, v8                                  // 000000005968: 68101045
	v_mov_b32_dpp v107, v104 quad_perm:[3,3,3,3] row_mask:0xf bank_mask:0xf// 00000000596C: 7ED602FA FF00FF68
	v_mov_b32_dpp v106, v104 quad_perm:[2,2,2,2] row_mask:0xf bank_mask:0xf// 000000005974: 7ED402FA FF00AA68
	v_mov_b32_dpp v105, v104 quad_perm:[1,1,1,1] row_mask:0xf bank_mask:0xf// 00000000597C: 7ED202FA FF005568
	v_mov_b32_dpp v104, v104 quad_perm:[0,0,0,0] row_mask:0xf bank_mask:0xf// 000000005984: 7ED002FA FF000068
	s_cmp_lt_i32 s46, 2                                        // 00000000598C: BF04822E
	s_cbranch_scc0 label_12E3                                  // 000000005990: BF840C6A
	s_nop 0                                                    // 000000005994: BF800000
	s_nop 0                                                    // 000000005998: BF800000

000000000000599c <label_0667>:
	s_waitcnt lgkmcnt(2)                                       // 00000000599C: BF8CC27F
	v_mfma_f32_16x16x32_f16 v[24:27], a[112:115], a[0:3], 0    // 0000000059A0: D3D40018 1A020170
	ds_read_b128 a[32:35], v14 offset:32768                    // 0000000059A8: DBFE8000 2000000E
	ds_read_b128 a[36:39], v14 offset:33792                    // 0000000059B0: DBFE8400 2400000E
	v_mfma_f32_16x16x32_f16 v[24:27], a[116:119], a[4:7], v[24:27]// 0000000059B8: D3D40018 1C620974
	v_add_u32_e32 v4, s66, v4                                  // 0000000059C0: 68080842
	v_add_u32_e32 v5, s66, v5                                  // 0000000059C4: 680A0A42
	v_add_u32_e32 v6, s66, v6                                  // 0000000059C8: 680C0C42
	v_add_u32_e32 v7, s66, v7                                  // 0000000059CC: 680E0E42
	v_mfma_f32_16x16x32_f16 v[24:27], a[120:123], a[8:11], v[24:27]// 0000000059D0: D3D40018 1C621178
	ds_read_b128 a[40:43], v14 offset:34816                    // 0000000059D8: DBFE8800 2800000E
	ds_read_b128 a[44:47], v14 offset:35840                    // 0000000059E0: DBFE8C00 2C00000E
	v_mfma_f32_16x16x32_f16 v[24:27], a[124:127], a[12:15], v[24:27]// 0000000059E8: D3D40018 1C62197C
	v_mul_f32_e32 v112, s47, v112                              // 0000000059F0: 0AE0E02F
	v_mul_f32_e32 v113, s47, v113                              // 0000000059F4: 0AE2E22F
	v_mfma_f32_16x16x32_f16 v[28:31], a[112:115], a[16:19], 0  // 0000000059F8: D3D4001C 1A022170
	ds_read_b128 v[56:59], v14 offset:49152                    // 000000005A00: D9FEC000 3800000E
	ds_read_b128 v[60:63], v14 offset:50176                    // 000000005A08: D9FEC400 3C00000E
	v_mfma_f32_16x16x32_f16 v[28:31], a[116:119], a[20:23], v[28:31]// 000000005A10: D3D4001C 1C722974
	v_mul_f32_e32 v114, s47, v114                              // 000000005A18: 0AE4E42F
	v_mul_f32_e32 v115, s47, v115                              // 000000005A1C: 0AE6E62F
	s_waitcnt lgkmcnt(6)                                       // 000000005A20: BF8CC67F
	v_mfma_f32_16x16x32_f16 v[28:31], a[120:123], a[24:27], v[28:31]// 000000005A24: D3D4001C 1C723178
	ds_read_b128 v[64:67], v14 offset:51200                    // 000000005A2C: D9FEC800 4000000E
	ds_read_b128 v[68:71], v14 offset:52224                    // 000000005A34: D9FECC00 4400000E
	v_mfma_f32_16x16x32_f16 v[28:31], a[124:127], a[28:31], v[28:31]// 000000005A3C: D3D4001C 1C72397C
	v_fma_f32 v24, v24, s57, -v104                             // 000000005A44: D1CB0018 85A07318
	v_fma_f32 v25, v25, s57, -v105                             // 000000005A4C: D1CB0019 85A47319
	s_waitcnt lgkmcnt(6)                                       // 000000005A54: BF8CC67F
	v_mfma_f32_16x16x32_f16 v[32:35], a[112:115], a[32:35], 0  // 000000005A58: D3D40020 1A024170
	ds_read_b128 v[72:75], v9 offset:16384                     // 000000005A60: D9FE4000 48000009
	ds_read_b128 v[76:79], v9 offset:17408                     // 000000005A68: D9FE4400 4C000009
	v_mfma_f32_16x16x32_f16 v[32:35], a[116:119], a[36:39], v[32:35]// 000000005A70: D3D40020 1C824974
	v_fma_f32 v26, v26, s57, -v106                             // 000000005A78: D1CB001A 85A8731A
	v_fma_f32 v27, v27, s57, -v107                             // 000000005A80: D1CB001B 85AC731B
	v_cvt_pk_f16_f32 v108, v108, v109                          // 000000005A88: D267006C 0002DB6C
	v_cvt_pk_f16_f32 v109, v110, v111                          // 000000005A90: D267006D 0002DF6E
	s_waitcnt lgkmcnt(6)                                       // 000000005A98: BF8CC67F
	v_mfma_f32_16x16x32_f16 v[32:35], a[120:123], a[40:43], v[32:35]// 000000005A9C: D3D40020 1C825178
	ds_read_b128 v[80:83], v9 offset:18432                     // 000000005AA4: D9FE4800 50000009
	ds_read_b128 v[84:87], v9 offset:19456                     // 000000005AAC: D9FE4C00 54000009
	v_mfma_f32_16x16x32_f16 v[32:35], a[124:127], a[44:47], v[32:35]// 000000005AB4: D3D40020 1C82597C
	v_fma_f32 v28, v28, s57, -v104                             // 000000005ABC: D1CB001C 85A0731C
	v_fma_f32 v29, v29, s57, -v105                             // 000000005AC4: D1CB001D 85A4731D
	v_cvt_pk_f16_f32 v110, v112, v113                          // 000000005ACC: D267006E 0002E370
	v_cvt_pk_f16_f32 v111, v114, v115                          // 000000005AD4: D267006F 0002E772
	s_waitcnt lgkmcnt(6)                                       // 000000005ADC: BF8CC67F
	v_mfma_f32_16x16x32_f16 v[36:39], a[112:115], v[56:59], 0  // 000000005AE0: D3D40024 0A027170
	ds_read_b64_tr_b16 v[88:89], v10 offset:16384              // 000000005AE8: D9C64000 5800000A
	ds_read_b64_tr_b16 v[90:91], v10 offset:16640              // 000000005AF0: D9C64100 5A00000A
	ds_read_b64_tr_b16 v[92:93], v10 offset:17408              // 000000005AF8: D9C64400 5C00000A
	ds_read_b64_tr_b16 v[94:95], v10 offset:17664              // 000000005B00: D9C64500 5E00000A
	v_mfma_f32_16x16x32_f16 v[36:39], a[116:119], v[60:63], v[36:39]// 000000005B08: D3D40024 0C927974
	v_fma_f32 v30, v30, s57, -v106                             // 000000005B10: D1CB001E 85A8731E
	v_fma_f32 v31, v31, s57, -v107                             // 000000005B18: D1CB001F 85AC731F
	s_waitcnt lgkmcnt(8)                                       // 000000005B20: BF8CC87F
	v_mfma_f32_16x16x32_f16 v[36:39], a[120:123], v[64:67], v[36:39]// 000000005B24: D3D40024 0C928178
	ds_read_b64_tr_b16 v[96:97], v10 offset:18432              // 000000005B2C: D9C64800 6000000A
	ds_read_b64_tr_b16 v[98:99], v10 offset:18688              // 000000005B34: D9C64900 6200000A
	ds_read_b64_tr_b16 v[100:101], v10 offset:19456            // 000000005B3C: D9C64C00 6400000A
	ds_read_b64_tr_b16 v[102:103], v10 offset:19712            // 000000005B44: D9C64D00 6600000A
	v_mfma_f32_16x16x32_f16 v[36:39], a[124:127], v[68:71], v[36:39]// 000000005B4C: D3D40024 0C92897C
	v_fma_f32 v32, v32, s57, -v104                             // 000000005B54: D1CB0020 85A07320
	v_fma_f32 v33, v33, s57, -v105                             // 000000005B5C: D1CB0021 85A47321
	v_fma_f32 v34, v34, s57, -v106                             // 000000005B64: D1CB0022 85A87322
	v_fma_f32 v35, v35, s57, -v107                             // 000000005B6C: D1CB0023 85AC7323
	s_cmp_lt_i32 s74, 16                                       // 000000005B74: BF04904A
	s_cbranch_scc0 label_0779                                  // 000000005B78: BF84009A
	s_mov_b32 s60, 0xffe0fffe                                  // 000000005B7C: BEBC00FF FFE0FFFE
	s_mov_b32 s61, 0xe000fe00                                  // 000000005B84: BEBD00FF E000FE00
	s_nop 0                                                    // 000000005B8C: BF800000
	s_add_u32 s62, 0, s46                                      // 000000005B90: 803E2E80
	s_cmp_lt_i32 s74, s62                                      // 000000005B94: BF043E4A
	s_cbranch_scc1 label_0714                                  // 000000005B98: BF85002D
	s_cmp_eq_i32 s74, s62                                      // 000000005B9C: BF003E4A
	s_cbranch_scc1 label_06F9                                  // 000000005BA0: BF850010
	s_add_u32 s62, 4, s46                                      // 000000005BA4: 803E2E84
	s_cmp_lt_i32 s74, s62                                      // 000000005BA8: BF043E4A
	s_cbranch_scc1 label_0734                                  // 000000005BAC: BF850048
	s_cmp_eq_i32 s74, s62                                      // 000000005BB0: BF003E4A
	s_cbranch_scc1 label_0719                                  // 000000005BB4: BF85002B
	s_add_u32 s62, 8, s46                                      // 000000005BB8: 803E2E88
	s_cmp_lt_i32 s74, s62                                      // 000000005BBC: BF043E4A
	s_cbranch_scc1 label_0754                                  // 000000005BC0: BF850063
	s_cmp_eq_i32 s74, s62                                      // 000000005BC4: BF003E4A
	s_cbranch_scc1 label_0739                                  // 000000005BC8: BF850046
	s_add_u32 s62, 12, s46                                     // 000000005BCC: 803E2E8C
	s_cmp_lt_i32 s74, s62                                      // 000000005BD0: BF043E4A
	s_cbranch_scc1 label_0774                                  // 000000005BD4: BF85007E
	s_cmp_eq_i32 s74, s62                                      // 000000005BD8: BF003E4A
	s_cbranch_scc1 label_0759                                  // 000000005BDC: BF850061
	s_branch label_0779                                        // 000000005BE0: BF820080

0000000000005be4 <label_06F9>:
	v_cndmask_b32_e64 v24, v24, v125, s[60:61]                 // 000000005BE4: D1000018 00F2FB18
	s_lshl_b32 s60, s60, 1                                     // 000000005BEC: 8E3C813C
	s_lshl_b32 s61, s61, 1                                     // 000000005BF0: 8E3D813D
	s_and_b32 s60, 0xfffeffff, s60                             // 000000005BF4: 863C3CFF FFFEFFFF
	s_and_b32 s61, 0xfffeffff, s61                             // 000000005BFC: 863D3DFF FFFEFFFF
	v_cndmask_b32_e64 v25, v25, v125, s[60:61]                 // 000000005C04: D1000019 00F2FB19
	s_lshl_b32 s60, s60, 1                                     // 000000005C0C: 8E3C813C
	s_lshl_b32 s61, s61, 1                                     // 000000005C10: 8E3D813D
	s_and_b32 s60, 0xfffeffff, s60                             // 000000005C14: 863C3CFF FFFEFFFF
	s_and_b32 s61, 0xfffeffff, s61                             // 000000005C1C: 863D3DFF FFFEFFFF
	v_cndmask_b32_e64 v26, v26, v125, s[60:61]                 // 000000005C24: D100001A 00F2FB1A
	s_lshl_b32 s60, s60, 1                                     // 000000005C2C: 8E3C813C
	s_lshl_b32 s61, s61, 1                                     // 000000005C30: 8E3D813D
	s_and_b32 s60, 0xfffeffff, s60                             // 000000005C34: 863C3CFF FFFEFFFF
	s_and_b32 s61, 0xfffeffff, s61                             // 000000005C3C: 863D3DFF FFFEFFFF
	v_cndmask_b32_e64 v27, v27, v125, s[60:61]                 // 000000005C44: D100001B 00F2FB1B
	s_branch label_0734                                        // 000000005C4C: BF820020

0000000000005c50 <label_0714>:
	v_mov_b32_e32 v24, v125                                    // 000000005C50: 7E30037D
	v_mov_b32_e32 v25, v125                                    // 000000005C54: 7E32037D
	v_mov_b32_e32 v26, v125                                    // 000000005C58: 7E34037D
	v_mov_b32_e32 v27, v125                                    // 000000005C5C: 7E36037D
	s_branch label_0734                                        // 000000005C60: BF82001B

0000000000005c64 <label_0719>:
	v_cndmask_b32_e64 v28, v28, v125, s[60:61]                 // 000000005C64: D100001C 00F2FB1C
	s_lshl_b32 s60, s60, 1                                     // 000000005C6C: 8E3C813C
	s_lshl_b32 s61, s61, 1                                     // 000000005C70: 8E3D813D
	s_and_b32 s60, 0xfffeffff, s60                             // 000000005C74: 863C3CFF FFFEFFFF
	s_and_b32 s61, 0xfffeffff, s61                             // 000000005C7C: 863D3DFF FFFEFFFF
	v_cndmask_b32_e64 v29, v29, v125, s[60:61]                 // 000000005C84: D100001D 00F2FB1D
	s_lshl_b32 s60, s60, 1                                     // 000000005C8C: 8E3C813C
	s_lshl_b32 s61, s61, 1                                     // 000000005C90: 8E3D813D
	s_and_b32 s60, 0xfffeffff, s60                             // 000000005C94: 863C3CFF FFFEFFFF
	s_and_b32 s61, 0xfffeffff, s61                             // 000000005C9C: 863D3DFF FFFEFFFF
	v_cndmask_b32_e64 v30, v30, v125, s[60:61]                 // 000000005CA4: D100001E 00F2FB1E
	s_lshl_b32 s60, s60, 1                                     // 000000005CAC: 8E3C813C
	s_lshl_b32 s61, s61, 1                                     // 000000005CB0: 8E3D813D
	s_and_b32 s60, 0xfffeffff, s60                             // 000000005CB4: 863C3CFF FFFEFFFF
	s_and_b32 s61, 0xfffeffff, s61                             // 000000005CBC: 863D3DFF FFFEFFFF
	v_cndmask_b32_e64 v31, v31, v125, s[60:61]                 // 000000005CC4: D100001F 00F2FB1F
	s_branch label_0754                                        // 000000005CCC: BF820020

0000000000005cd0 <label_0734>:
	v_mov_b32_e32 v28, v125                                    // 000000005CD0: 7E38037D
	v_mov_b32_e32 v29, v125                                    // 000000005CD4: 7E3A037D
	v_mov_b32_e32 v30, v125                                    // 000000005CD8: 7E3C037D
	v_mov_b32_e32 v31, v125                                    // 000000005CDC: 7E3E037D
	s_branch label_0754                                        // 000000005CE0: BF82001B

0000000000005ce4 <label_0739>:
	v_cndmask_b32_e64 v32, v32, v125, s[60:61]                 // 000000005CE4: D1000020 00F2FB20
	s_lshl_b32 s60, s60, 1                                     // 000000005CEC: 8E3C813C
	s_lshl_b32 s61, s61, 1                                     // 000000005CF0: 8E3D813D
	s_and_b32 s60, 0xfffeffff, s60                             // 000000005CF4: 863C3CFF FFFEFFFF
	s_and_b32 s61, 0xfffeffff, s61                             // 000000005CFC: 863D3DFF FFFEFFFF
	v_cndmask_b32_e64 v33, v33, v125, s[60:61]                 // 000000005D04: D1000021 00F2FB21
	s_lshl_b32 s60, s60, 1                                     // 000000005D0C: 8E3C813C
	s_lshl_b32 s61, s61, 1                                     // 000000005D10: 8E3D813D
	s_and_b32 s60, 0xfffeffff, s60                             // 000000005D14: 863C3CFF FFFEFFFF
	s_and_b32 s61, 0xfffeffff, s61                             // 000000005D1C: 863D3DFF FFFEFFFF
	v_cndmask_b32_e64 v34, v34, v125, s[60:61]                 // 000000005D24: D1000022 00F2FB22
	s_lshl_b32 s60, s60, 1                                     // 000000005D2C: 8E3C813C
	s_lshl_b32 s61, s61, 1                                     // 000000005D30: 8E3D813D
	s_and_b32 s60, 0xfffeffff, s60                             // 000000005D34: 863C3CFF FFFEFFFF
	s_and_b32 s61, 0xfffeffff, s61                             // 000000005D3C: 863D3DFF FFFEFFFF
	v_cndmask_b32_e64 v35, v35, v125, s[60:61]                 // 000000005D44: D1000023 00F2FB23
	s_branch label_0774                                        // 000000005D4C: BF820020

0000000000005d50 <label_0754>:
	v_mov_b32_e32 v32, v125                                    // 000000005D50: 7E40037D
	v_mov_b32_e32 v33, v125                                    // 000000005D54: 7E42037D
	v_mov_b32_e32 v34, v125                                    // 000000005D58: 7E44037D
	v_mov_b32_e32 v35, v125                                    // 000000005D5C: 7E46037D
	s_branch label_0774                                        // 000000005D60: BF82001B

0000000000005d64 <label_0759>:
	v_cndmask_b32_e64 v36, v36, v125, s[60:61]                 // 000000005D64: D1000024 00F2FB24
	s_lshl_b32 s60, s60, 1                                     // 000000005D6C: 8E3C813C
	s_lshl_b32 s61, s61, 1                                     // 000000005D70: 8E3D813D
	s_and_b32 s60, 0xfffeffff, s60                             // 000000005D74: 863C3CFF FFFEFFFF
	s_and_b32 s61, 0xfffeffff, s61                             // 000000005D7C: 863D3DFF FFFEFFFF
	v_cndmask_b32_e64 v37, v37, v125, s[60:61]                 // 000000005D84: D1000025 00F2FB25
	s_lshl_b32 s60, s60, 1                                     // 000000005D8C: 8E3C813C
	s_lshl_b32 s61, s61, 1                                     // 000000005D90: 8E3D813D
	s_and_b32 s60, 0xfffeffff, s60                             // 000000005D94: 863C3CFF FFFEFFFF
	s_and_b32 s61, 0xfffeffff, s61                             // 000000005D9C: 863D3DFF FFFEFFFF
	v_cndmask_b32_e64 v38, v38, v125, s[60:61]                 // 000000005DA4: D1000026 00F2FB26
	s_lshl_b32 s60, s60, 1                                     // 000000005DAC: 8E3C813C
	s_lshl_b32 s61, s61, 1                                     // 000000005DB0: 8E3D813D
	s_and_b32 s60, 0xfffeffff, s60                             // 000000005DB4: 863C3CFF FFFEFFFF
	s_and_b32 s61, 0xfffeffff, s61                             // 000000005DBC: 863D3DFF FFFEFFFF
	v_cndmask_b32_e64 v39, v39, v125, s[60:61]                 // 000000005DC4: D1000027 00F2FB27
	s_branch label_0779                                        // 000000005DCC: BF820005

0000000000005dd0 <label_0774>:
	v_mov_b32_e32 v36, v125                                    // 000000005DD0: 7E48037D
	v_mov_b32_e32 v37, v125                                    // 000000005DD4: 7E4A037D
	v_mov_b32_e32 v38, v125                                    // 000000005DD8: 7E4C037D
	v_mov_b32_e32 v39, v125                                    // 000000005DDC: 7E4E037D
	s_branch label_0779                                        // 000000005DE0: BF820000

0000000000005de4 <label_0779>:
	s_cmp_lt_i32 s99, 0x100                                    // 000000005DE4: BF04FF63 00000100
	s_cbranch_scc0 label_07EA                                  // 000000005DEC: BF840069
	s_cmp_le_i32 s99, 64                                       // 000000005DF0: BF05C063
	s_cbranch_scc1 label_0788                                  // 000000005DF4: BF85000A
	s_cmp_le_i32 s99, 0x80                                     // 000000005DF8: BF05FF63 00000080
	s_cbranch_scc1 label_07A0                                  // 000000005E00: BF85001A
	s_cmp_lt_i32 s99, 0xc0                                     // 000000005E04: BF04FF63 000000C0
	s_cbranch_scc1 label_07B8                                  // 000000005E0C: BF85002F
	s_cmp_lt_i32 s99, 0x100                                    // 000000005E10: BF04FF63 00000100
	s_cbranch_scc1 label_07D1                                  // 000000005E18: BF850045
	s_branch label_07EA                                        // 000000005E1C: BF82005D

0000000000005e20 <label_0788>:
	s_mov_b32 s60, 0                                           // 000000005E20: BEBC0080
	v_and_b32_e32 v20, 15, v0                                  // 000000005E24: 2628008F
	v_add_u32_e64 v20, v20, s60                                // 000000005E28: D1340014 00007914
	v_mul_i32_i24_e64 v21, s46, 16                             // 000000005E30: D1060015 0001202E
	v_add_u32_e32 v20, v20, v21                                // 000000005E38: 68282B14
	v_cmp_lt_u32_e64 s[60:61], v20, s99                        // 000000005E3C: D0C9003C 0000C714
	s_nop 1                                                    // 000000005E44: BF800001
	v_cndmask_b32_e64 v24, v125, v24, s[60:61]                 // 000000005E48: D1000018 00F2317D
	v_cndmask_b32_e64 v25, v125, v25, s[60:61]                 // 000000005E50: D1000019 00F2337D
	v_cndmask_b32_e64 v26, v125, v26, s[60:61]                 // 000000005E58: D100001A 00F2357D
	v_cndmask_b32_e64 v27, v125, v27, s[60:61]                 // 000000005E60: D100001B 00F2377D
	s_branch label_07B3                                        // 000000005E68: BF820013

0000000000005e6c <label_07A0>:
	s_mov_b32 s60, 64                                          // 000000005E6C: BEBC00C0
	v_and_b32_e32 v20, 15, v0                                  // 000000005E70: 2628008F
	v_add_u32_e64 v20, v20, s60                                // 000000005E74: D1340014 00007914
	v_mul_i32_i24_e64 v21, s46, 16                             // 000000005E7C: D1060015 0001202E
	v_add_u32_e32 v20, v20, v21                                // 000000005E84: 68282B14
	v_cmp_lt_u32_e64 s[60:61], v20, s99                        // 000000005E88: D0C9003C 0000C714
	s_nop 1                                                    // 000000005E90: BF800001
	v_cndmask_b32_e64 v28, v125, v28, s[60:61]                 // 000000005E94: D100001C 00F2397D
	v_cndmask_b32_e64 v29, v125, v29, s[60:61]                 // 000000005E9C: D100001D 00F23B7D
	v_cndmask_b32_e64 v30, v125, v30, s[60:61]                 // 000000005EA4: D100001E 00F23D7D
	v_cndmask_b32_e64 v31, v125, v31, s[60:61]                 // 000000005EAC: D100001F 00F23F7D
	s_branch label_07CC                                        // 000000005EB4: BF820019

0000000000005eb8 <label_07B3>:
	v_mov_b32_e32 v28, v125                                    // 000000005EB8: 7E38037D
	v_mov_b32_e32 v29, v125                                    // 000000005EBC: 7E3A037D
	v_mov_b32_e32 v30, v125                                    // 000000005EC0: 7E3C037D
	v_mov_b32_e32 v31, v125                                    // 000000005EC4: 7E3E037D
	s_branch label_07CC                                        // 000000005EC8: BF820014

0000000000005ecc <label_07B8>:
	s_mov_b32 s60, 0x80                                        // 000000005ECC: BEBC00FF 00000080
	v_and_b32_e32 v20, 15, v0                                  // 000000005ED4: 2628008F
	v_add_u32_e64 v20, v20, s60                                // 000000005ED8: D1340014 00007914
	v_mul_i32_i24_e64 v21, s46, 16                             // 000000005EE0: D1060015 0001202E
	v_add_u32_e32 v20, v20, v21                                // 000000005EE8: 68282B14
	v_cmp_lt_u32_e64 s[60:61], v20, s99                        // 000000005EEC: D0C9003C 0000C714
	s_nop 1                                                    // 000000005EF4: BF800001
	v_cndmask_b32_e64 v32, v125, v32, s[60:61]                 // 000000005EF8: D1000020 00F2417D
	v_cndmask_b32_e64 v33, v125, v33, s[60:61]                 // 000000005F00: D1000021 00F2437D
	v_cndmask_b32_e64 v34, v125, v34, s[60:61]                 // 000000005F08: D1000022 00F2457D
	v_cndmask_b32_e64 v35, v125, v35, s[60:61]                 // 000000005F10: D1000023 00F2477D
	s_branch label_07E5                                        // 000000005F18: BF820019

0000000000005f1c <label_07CC>:
	v_mov_b32_e32 v32, v125                                    // 000000005F1C: 7E40037D
	v_mov_b32_e32 v33, v125                                    // 000000005F20: 7E42037D
	v_mov_b32_e32 v34, v125                                    // 000000005F24: 7E44037D
	v_mov_b32_e32 v35, v125                                    // 000000005F28: 7E46037D
	s_branch label_07E5                                        // 000000005F2C: BF820014

0000000000005f30 <label_07D1>:
	s_mov_b32 s60, 0xc0                                        // 000000005F30: BEBC00FF 000000C0
	v_and_b32_e32 v20, 15, v0                                  // 000000005F38: 2628008F
	v_add_u32_e64 v20, v20, s60                                // 000000005F3C: D1340014 00007914
	v_mul_i32_i24_e64 v21, s46, 16                             // 000000005F44: D1060015 0001202E
	v_add_u32_e32 v20, v20, v21                                // 000000005F4C: 68282B14
	v_cmp_lt_u32_e64 s[60:61], v20, s99                        // 000000005F50: D0C9003C 0000C714
	s_nop 1                                                    // 000000005F58: BF800001
	v_cndmask_b32_e64 v36, v125, v36, s[60:61]                 // 000000005F5C: D1000024 00F2497D
	v_cndmask_b32_e64 v37, v125, v37, s[60:61]                 // 000000005F64: D1000025 00F24B7D
	v_cndmask_b32_e64 v38, v125, v38, s[60:61]                 // 000000005F6C: D1000026 00F24D7D
	v_cndmask_b32_e64 v39, v125, v39, s[60:61]                 // 000000005F74: D1000027 00F24F7D
	s_branch label_07EA                                        // 000000005F7C: BF820005

0000000000005f80 <label_07E5>:
	v_mov_b32_e32 v36, v125                                    // 000000005F80: 7E48037D
	v_mov_b32_e32 v37, v125                                    // 000000005F84: 7E4A037D
	v_mov_b32_e32 v38, v125                                    // 000000005F88: 7E4C037D
	v_mov_b32_e32 v39, v125                                    // 000000005F8C: 7E4E037D
	s_branch label_07EA                                        // 000000005F90: BF820000

0000000000005f94 <label_07EA>:
	s_addk_i32 s74, 0x1                                        // 000000005F94: B74A0001
	s_waitcnt lgkmcnt(8)                                       // 000000005F98: BF8CC87F
	v_mfma_f32_16x16x32_f16 v[56:59], v[72:75], a[48:51], 0    // 000000005F9C: D3D40038 12026148
	v_exp_f32_e32 v24, v24                                     // 000000005FA4: 7E304118
	v_exp_f32_e32 v25, v25                                     // 000000005FA8: 7E324119
	v_mfma_f32_16x16x32_f16 v[56:59], v[76:79], a[52:55], v[56:59]// 000000005FAC: D3D40038 14E2694C
	v_exp_f32_e32 v26, v26                                     // 000000005FB4: 7E34411A
	v_exp_f32_e32 v27, v27                                     // 000000005FB8: 7E36411B
	v_mfma_f32_16x16x32_f16 v[56:59], v[80:83], a[56:59], v[56:59]// 000000005FBC: D3D40038 14E27150
	ds_read_b64_tr_b16 a[112:113], v10                         // 000000005FC4: DBC60000 7000000A
	ds_read_b64_tr_b16 a[114:115], v10 offset:256              // 000000005FCC: DBC60100 7200000A
	v_mfma_f32_16x16x32_f16 v[56:59], v[84:87], a[60:63], v[56:59]// 000000005FD4: D3D40038 14E27954
	v_fma_f32 v36, v36, s57, -v104                             // 000000005FDC: D1CB0024 85A07324
	v_fma_f32 v37, v37, s57, -v105                             // 000000005FE4: D1CB0025 85A47325
	v_exp_f32_e32 v28, v28                                     // 000000005FEC: 7E38411C
	v_exp_f32_e32 v29, v29                                     // 000000005FF0: 7E3A411D
	v_mfma_f32_16x16x32_f16 v[60:63], v[72:75], a[64:67], 0    // 000000005FF4: D3D4003C 12028148
	ds_read_b64_tr_b16 a[116:117], v10 offset:1024             // 000000005FFC: DBC60400 7400000A
	ds_read_b64_tr_b16 a[118:119], v10 offset:1280             // 000000006004: DBC60500 7600000A
	v_mfma_f32_16x16x32_f16 v[60:63], v[76:79], a[68:71], v[60:63]// 00000000600C: D3D4003C 14F2894C
	v_fma_f32 v38, v38, s57, -v106                             // 000000006014: D1CB0026 85A87326
	v_fma_f32 v39, v39, s57, -v107                             // 00000000601C: D1CB0027 85AC7327
	v_exp_f32_e32 v30, v30                                     // 000000006024: 7E3C411E
	v_exp_f32_e32 v31, v31                                     // 000000006028: 7E3E411F
	v_mfma_f32_16x16x32_f16 v[60:63], v[80:83], a[72:75], v[60:63]// 00000000602C: D3D4003C 14F29150
	v_exp_f32_e32 v32, v32                                     // 000000006034: 7E404120
	v_exp_f32_e32 v33, v33                                     // 000000006038: 7E424121
	v_mfma_f32_16x16x32_f16 v[60:63], v[84:87], a[76:79], v[60:63]// 00000000603C: D3D4003C 14F29954
	v_cvt_pk_f16_f32 v116, v24, v25                            // 000000006044: D2670074 00023318
	v_cvt_pk_f16_f32 v117, v26, v27                            // 00000000604C: D2670075 0002371A
	v_exp_f32_e32 v34, v34                                     // 000000006054: 7E444122
	v_mfma_f32_16x16x32_f16 v[64:67], v[72:75], a[80:83], 0    // 000000006058: D3D40040 1202A148
	v_exp_f32_e32 v35, v35                                     // 000000006060: 7E464123
	v_exp_f32_e32 v36, v36                                     // 000000006064: 7E484124
	v_mfma_f32_16x16x32_f16 v[64:67], v[76:79], a[84:87], v[64:67]// 000000006068: D3D40040 1502A94C
	v_cvt_pk_f16_f32 v118, v28, v29                            // 000000006070: D2670076 00023B1C
	v_cvt_pk_f16_f32 v119, v30, v31                            // 000000006078: D2670077 00023F1E
	v_exp_f32_e32 v37, v37                                     // 000000006080: 7E4A4125
	v_mfma_f32_16x16x32_f16 v[64:67], v[80:83], a[88:91], v[64:67]// 000000006084: D3D40040 1502B150
	ds_read_b64_tr_b16 a[120:121], v10 offset:2048             // 00000000608C: DBC60800 7800000A
	ds_read_b64_tr_b16 a[122:123], v10 offset:2304             // 000000006094: DBC60900 7A00000A
	v_mfma_f32_16x16x32_f16 v[64:67], v[84:87], a[92:95], v[64:67]// 00000000609C: D3D40040 1502B954
	v_exp_f32_e32 v38, v38                                     // 0000000060A4: 7E4C4126
	v_exp_f32_e32 v39, v39                                     // 0000000060A8: 7E4E4127
	v_permlane16_swap_b32_e32 v116, v118                       // 0000000060AC: 7EE8B376
	v_mfma_f32_16x16x32_f16 v[68:71], v[72:75], a[96:99], 0    // 0000000060B0: D3D40044 1202C148
	ds_read_b64_tr_b16 a[124:125], v10 offset:3072             // 0000000060B8: DBC60C00 7C00000A
	ds_read_b64_tr_b16 a[126:127], v10 offset:3328             // 0000000060C0: DBC60D00 7E00000A
	v_mfma_f32_16x16x32_f16 v[68:71], v[76:79], a[100:103], v[68:71]// 0000000060C8: D3D40044 1512C94C
	v_cvt_pk_f16_f32 v120, v32, v33                            // 0000000060D0: D2670078 00024320
	v_cvt_pk_f16_f32 v121, v34, v35                            // 0000000060D8: D2670079 00024722
	v_cvt_pk_f16_f32 v122, v36, v37                            // 0000000060E0: D267007A 00024B24
	v_cvt_pk_f16_f32 v123, v38, v39                            // 0000000060E8: D267007B 00024F26
	v_permlane16_swap_b32_e32 v117, v119                       // 0000000060F0: 7EEAB377
	v_mfma_f32_16x16x32_f16 v[68:71], v[80:83], a[104:107], v[68:71]// 0000000060F4: D3D40044 1512D150
	v_permlane16_swap_b32_e32 v120, v122                       // 0000000060FC: 7EF0B37A
	v_mfma_f32_16x16x32_f16 v[68:71], v[84:87], a[108:111], v[68:71]// 000000006100: D3D40044 1512D954
	v_permlane16_swap_b32_e32 v121, v123                       // 000000006108: 7EF2B37B
	s_waitcnt lgkmcnt(8)                                       // 00000000610C: BF8CC87F
	v_mfma_f32_32x32x16_f16 v[126:141], v[88:91], v[116:119], v[126:141]// 000000006110: D3D5007E 05FAE958
	ds_read_b64_tr_b16 a[0:1], v15                             // 000000006118: DBC60000 0000000F
	ds_read_b64_tr_b16 a[2:3], v15 offset:256                  // 000000006120: DBC60100 0200000F
	ds_read_b64_tr_b16 a[4:5], v16                             // 000000006128: DBC60000 04000010
	ds_read_b64_tr_b16 a[6:7], v16 offset:256                  // 000000006130: DBC60100 06000010
	buffer_atomic_pk_add_f16 v108, v4, s[32:35], 0 offen       // 000000006138: E1381000 80086C04
	v_mfma_f32_32x32x16_f16 v[142:157], v[92:95], v[116:119], v[142:157]// 000000006140: D3D5008E 063AE95C
	v_subrev_f32_dpp v56, v124, v56 quad_perm:[0,0,0,0] row_mask:0xf bank_mask:0xf// 000000006148: 067070FA FF00007C
	v_subrev_f32_dpp v57, v124, v57 quad_perm:[1,1,1,1] row_mask:0xf bank_mask:0xf// 000000006150: 067272FA FF00557C
	v_subrev_f32_dpp v58, v124, v58 quad_perm:[2,2,2,2] row_mask:0xf bank_mask:0xf// 000000006158: 067474FA FF00AA7C
	v_subrev_f32_dpp v59, v124, v59 quad_perm:[3,3,3,3] row_mask:0xf bank_mask:0xf// 000000006160: 067676FA FF00FF7C
	v_subrev_f32_dpp v60, v124, v60 quad_perm:[0,0,0,0] row_mask:0xf bank_mask:0xf// 000000006168: 067878FA FF00007C
	v_subrev_f32_dpp v61, v124, v61 quad_perm:[1,1,1,1] row_mask:0xf bank_mask:0xf// 000000006170: 067A7AFA FF00557C
	v_subrev_f32_dpp v62, v124, v62 quad_perm:[2,2,2,2] row_mask:0xf bank_mask:0xf// 000000006178: 067C7CFA FF00AA7C
	v_subrev_f32_dpp v63, v124, v63 quad_perm:[3,3,3,3] row_mask:0xf bank_mask:0xf// 000000006180: 067E7EFA FF00FF7C
	v_mul_f32_e32 v56, v24, v56                                // 000000006188: 0A707118
	v_mul_f32_e32 v57, v25, v57                                // 00000000618C: 0A727319
	v_mfma_f32_32x32x16_f16 v[158:173], v[96:99], v[116:119], v[158:173]// 000000006190: D3D5009E 067AE960
	ds_read_b64_tr_b16 a[8:9], v15 offset:8192                 // 000000006198: DBC62000 0800000F
	ds_read_b64_tr_b16 a[10:11], v15 offset:8448               // 0000000061A0: DBC62100 0A00000F
	ds_read_b64_tr_b16 a[12:13], v16 offset:8192               // 0000000061A8: DBC62000 0C000010
	ds_read_b64_tr_b16 a[14:15], v16 offset:8448               // 0000000061B0: DBC62100 0E000010
	v_mfma_f32_32x32x16_f16 v[174:189], v[100:103], v[116:119], v[174:189]// 0000000061B8: D3D500AE 06BAE964
	v_mul_f32_e32 v58, v26, v58                                // 0000000061C0: 0A74751A
	v_mul_f32_e32 v59, v27, v59                                // 0000000061C4: 0A76771B
	v_mul_f32_e32 v60, v28, v60                                // 0000000061C8: 0A78791C
	v_mul_f32_e32 v61, v29, v61                                // 0000000061CC: 0A7A7B1D
	v_mul_f32_e32 v62, v30, v62                                // 0000000061D0: 0A7C7D1E
	v_mul_f32_e32 v63, v31, v63                                // 0000000061D4: 0A7E7F1F
	v_cvt_pk_f16_f32 v56, v56, v57                             // 0000000061D8: D2670038 00027338
	v_cvt_pk_f16_f32 v57, v58, v59                             // 0000000061E0: D2670039 0002773A
	v_cvt_pk_f16_f32 v58, v60, v61                             // 0000000061E8: D267003A 00027B3C
	v_cvt_pk_f16_f32 v59, v62, v63                             // 0000000061F0: D267003B 00027F3E
	v_subrev_f32_dpp v64, v124, v64 quad_perm:[0,0,0,0] row_mask:0xf bank_mask:0xf// 0000000061F8: 068080FA FF00007C
	v_subrev_f32_dpp v65, v124, v65 quad_perm:[1,1,1,1] row_mask:0xf bank_mask:0xf// 000000006200: 068282FA FF00557C
	v_subrev_f32_dpp v66, v124, v66 quad_perm:[2,2,2,2] row_mask:0xf bank_mask:0xf// 000000006208: 068484FA FF00AA7C
	v_subrev_f32_dpp v67, v124, v67 quad_perm:[3,3,3,3] row_mask:0xf bank_mask:0xf// 000000006210: 068686FA FF00FF7C
	v_mfma_f32_32x32x16_f16 v[190:205], v[88:91], v[120:123], v[190:205]// 000000006218: D3D500BE 06FAF158
	ds_read_b64_tr_b16 a[16:17], v15 offset:16384              // 000000006220: DBC64000 1000000F
	ds_read_b64_tr_b16 a[18:19], v15 offset:16640              // 000000006228: DBC64100 1200000F
	ds_write_b64 v12, v[56:57] offset:32768                    // 000000006230: D89A8000 0000380C
	ds_write_b64 v12, v[58:59] offset:35072                    // 000000006238: D89A8900 00003A0C
	buffer_atomic_pk_add_f16 v109, v5, s[32:35], 0 offen       // 000000006240: E1381000 80086D05
	v_mfma_f32_32x32x16_f16 v[206:221], v[92:95], v[120:123], v[206:221]// 000000006248: D3D500CE 073AF15C
	v_subrev_f32_dpp v68, v124, v68 quad_perm:[0,0,0,0] row_mask:0xf bank_mask:0xf// 000000006250: 068888FA FF00007C
	v_subrev_f32_dpp v69, v124, v69 quad_perm:[1,1,1,1] row_mask:0xf bank_mask:0xf// 000000006258: 068A8AFA FF00557C
	v_subrev_f32_dpp v70, v124, v70 quad_perm:[2,2,2,2] row_mask:0xf bank_mask:0xf// 000000006260: 068C8CFA FF00AA7C
	v_subrev_f32_dpp v71, v124, v71 quad_perm:[3,3,3,3] row_mask:0xf bank_mask:0xf// 000000006268: 068E8EFA FF00FF7C
	v_mul_f32_e32 v64, v32, v64                                // 000000006270: 0A808120
	v_mul_f32_e32 v65, v33, v65                                // 000000006274: 0A828321
	v_mul_f32_e32 v66, v34, v66                                // 000000006278: 0A848522
	v_mul_f32_e32 v67, v35, v67                                // 00000000627C: 0A868723
	v_mul_f32_e32 v68, v36, v68                                // 000000006280: 0A888924
	v_mul_f32_e32 v69, v37, v69                                // 000000006284: 0A8A8B25
	v_mul_f32_e32 v70, v38, v70                                // 000000006288: 0A8C8D26
	v_mul_f32_e32 v71, v39, v71                                // 00000000628C: 0A8E8F27
	v_cvt_pk_f16_f32 v60, v64, v65                             // 000000006290: D267003C 00028340
	v_cvt_pk_f16_f32 v61, v66, v67                             // 000000006298: D267003D 00028742
	v_cvt_pk_f16_f32 v62, v68, v69                             // 0000000062A0: D267003E 00028B44
	v_cvt_pk_f16_f32 v63, v70, v71                             // 0000000062A8: D267003F 00028F46
	v_mfma_f32_32x32x16_f16 v[222:237], v[96:99], v[120:123], v[222:237]// 0000000062B0: D3D500DE 077AF160
	ds_read_b32 v104, v13 offset:42496                         // 0000000062B8: D86CA600 6800000D
	ds_read_b32 v124, v13 offset:42752                         // 0000000062C0: D86CA700 7C00000D
	ds_write_b64 v12, v[60:61] offset:37376                    // 0000000062C8: D89A9200 00003C0C
	ds_write_b64 v12, v[62:63] offset:39680                    // 0000000062D0: D89A9B00 00003E0C
	v_mfma_f32_32x32x16_f16 v[238:253], v[100:103], v[120:123], v[238:253]// 0000000062D8: D3D500EE 07BAF164
	v_permlane16_swap_b32_e32 v56, v58                         // 0000000062E0: 7E70B33A
	v_permlane16_swap_b32_e32 v57, v59                         // 0000000062E4: 7E72B33B
	s_nop 1                                                    // 0000000062E8: BF800001
	s_waitcnt lgkmcnt(12)                                      // 0000000062EC: BF8CCC7F
	v_mfma_f32_32x32x16_f16 a[128:143], a[112:115], v[56:59], a[128:143]// 0000000062F0: D3D58080 0E027170
	ds_read_b64_tr_b16 a[20:21], v16 offset:16384              // 0000000062F8: DBC64000 14000010
	ds_read_b64_tr_b16 a[22:23], v16 offset:16640              // 000000006300: DBC64100 16000010
	ds_read_b64_tr_b16 a[24:25], v15 offset:24576              // 000000006308: DBC66000 1800000F
	ds_read_b64_tr_b16 a[26:27], v15 offset:24832              // 000000006310: DBC66100 1A00000F
	ds_read_b64_tr_b16 a[28:29], v16 offset:24576              // 000000006318: DBC66000 1C000010
	ds_read_b64_tr_b16 a[30:31], v16 offset:24832              // 000000006320: DBC66100 1E000010
	ds_read_b64_tr_b16 a[32:33], v15 offset:32768              // 000000006328: DBC68000 2000000F
	ds_read_b64_tr_b16 a[34:35], v15 offset:33024              // 000000006330: DBC68100 2200000F
	v_mfma_f32_32x32x16_f16 a[144:159], a[116:119], v[56:59], a[144:159]// 000000006338: D3D58090 0E427174
	v_permlane16_swap_b32_e32 v60, v62                         // 000000006340: 7E78B33E
	buffer_atomic_pk_add_f16 v110, v6, s[32:35], 0 offen       // 000000006344: E1381000 80086E06
	s_waitcnt lgkmcnt(8)                                       // 00000000634C: BF8CC87F
	s_barrier                                                  // 000000006350: BF8A0000
	v_mfma_f32_32x32x16_f16 a[160:175], a[120:123], v[56:59], a[160:175]// 000000006354: D3D580A0 0E827178
	ds_read_b64_tr_b16 v[24:25], v11 offset:32768              // 00000000635C: D9C68000 1800000B
	ds_read_b64_tr_b16 v[26:27], v11 offset:32800              // 000000006364: D9C68020 1A00000B
	ds_read_b64_tr_b16 v[28:29], v11 offset:33920              // 00000000636C: D9C68480 1C00000B
	ds_read_b64_tr_b16 v[30:31], v11 offset:33952              // 000000006374: D9C684A0 1E00000B
	ds_read_b64_tr_b16 v[32:33], v11 offset:35072              // 00000000637C: D9C68900 2000000B
	ds_read_b64_tr_b16 v[34:35], v11 offset:35104              // 000000006384: D9C68920 2200000B
	ds_read_b64_tr_b16 v[36:37], v11 offset:36224              // 00000000638C: D9C68D80 2400000B
	ds_read_b64_tr_b16 v[38:39], v11 offset:36256              // 000000006394: D9C68DA0 2600000B
	v_mfma_f32_32x32x16_f16 a[176:191], a[124:127], v[56:59], a[176:191]// 00000000639C: D3D580B0 0EC2717C
	v_permlane16_swap_b32_e32 v61, v63                         // 0000000063A4: 7E7AB33F
	v_mul_f32_e32 v104, s48, v104                              // 0000000063A8: 0AD0D030
	v_mfma_f32_32x32x16_f16 a[192:207], a[112:115], v[60:63], a[192:207]// 0000000063AC: D3D580C0 0F027970
	ds_read_b64_tr_b16 v[40:41], v11 offset:37376              // 0000000063B4: D9C69200 2800000B
	ds_read_b64_tr_b16 v[42:43], v11 offset:37408              // 0000000063BC: D9C69220 2A00000B
	ds_read_b64_tr_b16 v[44:45], v11 offset:38528              // 0000000063C4: D9C69680 2C00000B
	ds_read_b64_tr_b16 v[46:47], v11 offset:38560              // 0000000063CC: D9C696A0 2E00000B
	ds_read_b64_tr_b16 a[36:37], v16 offset:32768              // 0000000063D4: DBC68000 24000010
	ds_read_b64_tr_b16 a[38:39], v16 offset:33024              // 0000000063DC: DBC68100 26000010
	ds_read_b64_tr_b16 a[40:41], v15 offset:40960              // 0000000063E4: DBC6A000 2800000F
	ds_read_b64_tr_b16 a[42:43], v15 offset:41216              // 0000000063EC: DBC6A100 2A00000F
	v_mfma_f32_32x32x16_f16 a[208:223], a[116:119], v[60:63], a[208:223]// 0000000063F4: D3D580D0 0F427974
	v_mov_b32_dpp v107, v104 quad_perm:[3,3,3,3] row_mask:0xf bank_mask:0xf// 0000000063FC: 7ED602FA FF00FF68
	v_mov_b32_dpp v106, v104 quad_perm:[2,2,2,2] row_mask:0xf bank_mask:0xf// 000000006404: 7ED402FA FF00AA68
	buffer_atomic_pk_add_f16 v111, v7, s[32:35], 0 offen       // 00000000640C: E1381000 80086F07
	v_mfma_f32_32x32x16_f16 a[224:239], a[120:123], v[60:63], a[224:239]// 000000006414: D3D580E0 0F827978
	ds_read_b64_tr_b16 v[48:49], v11 offset:39680              // 00000000641C: D9C69B00 3000000B
	ds_read_b64_tr_b16 v[50:51], v11 offset:39712              // 000000006424: D9C69B20 3200000B
	ds_read_b64_tr_b16 v[52:53], v11 offset:40832              // 00000000642C: D9C69F80 3400000B
	ds_read_b64_tr_b16 v[54:55], v11 offset:40864              // 000000006434: D9C69FA0 3600000B
	ds_read_b64_tr_b16 a[44:45], v16 offset:40960              // 00000000643C: DBC6A000 2C000010
	ds_read_b64_tr_b16 a[46:47], v16 offset:41216              // 000000006444: DBC6A100 2E000010
	v_mfma_f32_32x32x16_f16 a[240:255], a[124:127], v[60:63], a[240:255]// 00000000644C: D3D580F0 0FC2797C
	v_mov_b32_dpp v105, v104 quad_perm:[1,1,1,1] row_mask:0xf bank_mask:0xf// 000000006454: 7ED202FA FF005568
	v_mov_b32_dpp v104, v104 quad_perm:[0,0,0,0] row_mask:0xf bank_mask:0xf// 00000000645C: 7ED002FA FF000068
	s_waitcnt vmcnt(4) lgkmcnt(6)                              // 000000006464: BF8C0674
	s_barrier                                                  // 000000006468: BF8A0000
	v_mfma_f32_16x16x32_f16 v[108:111], a[0:3], v[24:27], 0    // 00000000646C: D3D4006C 0A023100
	ds_read_b64_tr_b16 v[56:57], v15 offset:49152              // 000000006474: D9C6C000 3800000F
	ds_read_b64_tr_b16 v[58:59], v15 offset:49408              // 00000000647C: D9C6C100 3A00000F
	ds_read_b64_tr_b16 v[60:61], v16 offset:49152              // 000000006484: D9C6C000 3C000010
	ds_read_b64_tr_b16 v[62:63], v16 offset:49408              // 00000000648C: D9C6C100 3E000010
	v_mfma_f32_16x16x32_f16 v[108:111], a[8:11], v[28:31], v[108:111]// 000000006494: D3D4006C 0DB23908
	s_mov_b32 m0, s85                                          // 00000000649C: BEFC0055
	buffer_load_dwordx4 v1, s[8:11], 0 idxen lds               // 0000000064A0: E05D2000 80020001
	v_mfma_f32_16x16x32_f16 v[108:111], a[16:19], v[32:35], v[108:111]// 0000000064A8: D3D4006C 0DB24110
	ds_read_b64_tr_b16 v[64:65], v15 offset:57344              // 0000000064B0: D9C6E000 4000000F
	ds_read_b64_tr_b16 v[66:67], v15 offset:57600              // 0000000064B8: D9C6E100 4200000F
	ds_read_b64_tr_b16 v[68:69], v16 offset:57344              // 0000000064C0: D9C6E000 44000010
	ds_read_b64_tr_b16 v[70:71], v16 offset:57600              // 0000000064C8: D9C6E100 46000010
	v_mfma_f32_16x16x32_f16 v[108:111], a[24:27], v[36:39], v[108:111]// 0000000064D0: D3D4006C 0DB24918
	s_mov_b32 m0, s89                                          // 0000000064D8: BEFC0059
	buffer_load_dwordx4 v254, s[20:23], 0 idxen lds            // 0000000064DC: E05D2000 800500FE
	v_mfma_f32_16x16x32_f16 v[108:111], a[32:35], v[40:43], v[108:111]// 0000000064E4: D3D4006C 0DB25120
	ds_read_b128 a[112:115], v9 offset:4096                    // 0000000064EC: DBFE1000 70000009
	ds_read_b128 a[116:119], v9 offset:5120                    // 0000000064F4: DBFE1400 74000009
	v_mfma_f32_16x16x32_f16 v[108:111], a[40:43], v[44:47], v[108:111]// 0000000064FC: D3D4006C 0DB25928
	s_mov_b32 m0, s81                                          // 000000006504: BEFC0051
	buffer_load_dword v8, s[24:27], 0 idxen lds                // 000000006508: E0512000 80060008
	s_waitcnt lgkmcnt(4)                                       // 000000006510: BF8CC47F
	s_barrier                                                  // 000000006514: BF8A0000
	v_mfma_f32_16x16x32_f16 v[108:111], v[56:59], v[48:51], v[108:111]// 000000006518: D3D4006C 05B26138
	ds_read_b128 a[120:123], v9 offset:6144                    // 000000006520: DBFE1800 78000009
	ds_read_b128 a[124:127], v9 offset:7168                    // 000000006528: DBFE1C00 7C000009
	v_mfma_f32_16x16x32_f16 v[108:111], v[64:67], v[52:55], v[108:111]// 000000006530: D3D4006C 05B26940
	s_add_u32 s60, 64, s59                                     // 000000006538: 803C3BC0
	s_cmp_lt_u32 s60, s58                                      // 00000000653C: BF0A3A3C
	s_cselect_b32 s68, s68, 0                                  // 000000006540: 85448044
	s_cselect_b32 s98, s98, 0                                  // 000000006544: 85628062
	;; [unrolled: 1-line block ×3, first 2 shown]
	v_mfma_f32_16x16x32_f16 v[112:115], a[4:7], v[24:27], 0    // 00000000654C: D3D40070 0A023104
	ds_read_b128 a[0:3], v14                                   // 000000006554: DBFE0000 0000000E
	ds_read_b128 a[4:7], v14 offset:1024                       // 00000000655C: DBFE0400 0400000E
	v_mfma_f32_16x16x32_f16 v[112:115], a[12:15], v[28:31], v[112:115]// 000000006564: D3D40070 0DC2390C
	v_add_u32_e32 v1, s68, v1                                  // 00000000656C: 68020244
	v_add_u32_e32 v254, s98, v254                              // 000000006570: 69FDFC62
	v_add_u32_e32 v8, s69, v8                                  // 000000006574: 68101045
	v_mfma_f32_16x16x32_f16 v[112:115], a[20:23], v[32:35], v[112:115]// 000000006578: D3D40070 0DC24114
	ds_read_b128 a[8:11], v14 offset:2048                      // 000000006580: DBFE0800 0800000E
	ds_read_b128 a[12:15], v14 offset:3072                     // 000000006588: DBFE0C00 0C00000E
	v_mfma_f32_16x16x32_f16 v[112:115], a[28:31], v[36:39], v[112:115]// 000000006590: D3D40070 0DC2491C
	v_mul_f32_e32 v108, s47, v108                              // 000000006598: 0AD8D82F
	v_mul_f32_e32 v109, s47, v109                              // 00000000659C: 0ADADA2F
	v_mfma_f32_16x16x32_f16 v[112:115], a[36:39], v[40:43], v[112:115]// 0000000065A0: D3D40070 0DC25124
	ds_read_b128 a[16:19], v14 offset:16384                    // 0000000065A8: DBFE4000 1000000E
	ds_read_b128 a[20:23], v14 offset:17408                    // 0000000065B0: DBFE4400 1400000E
	v_mfma_f32_16x16x32_f16 v[112:115], a[44:47], v[44:47], v[112:115]// 0000000065B8: D3D40070 0DC2592C
	v_mul_f32_e32 v110, s47, v110                              // 0000000065C0: 0ADCDC2F
	s_cmp_ge_u32 s59, s73                                      // 0000000065C4: BF09493B
	s_cselect_b32 s66, s67, s66                                // 0000000065C8: 85424243
	s_waitcnt lgkmcnt(10)                                      // 0000000065CC: BF8CCA7F
	v_mfma_f32_16x16x32_f16 v[112:115], v[60:63], v[48:51], v[112:115]// 0000000065D0: D3D40070 05C2613C
	ds_read_b128 a[24:27], v14 offset:18432                    // 0000000065D8: DBFE4800 1800000E
	ds_read_b128 a[28:31], v14 offset:19456                    // 0000000065E0: DBFE4C00 1C00000E
	v_mfma_f32_16x16x32_f16 v[112:115], v[68:71], v[52:55], v[112:115]// 0000000065E8: D3D40070 05C26944
	s_addk_i32 s59, 0x10                                       // 0000000065F0: B73B0010
	v_mul_f32_e32 v111, s47, v111                              // 0000000065F4: 0ADEDE2F
	s_cmp_lt_i32 s59, s58                                      // 0000000065F8: BF043A3B
	s_cbranch_scc0 label_12E0                                  // 0000000065FC: BF84094C
	s_waitcnt lgkmcnt(2)                                       // 000000006600: BF8CC27F
	v_mfma_f32_16x16x32_f16 v[24:27], a[112:115], a[0:3], 0    // 000000006604: D3D40018 1A020170
	ds_read_b128 a[32:35], v14 offset:32768                    // 00000000660C: DBFE8000 2000000E
	ds_read_b128 a[36:39], v14 offset:33792                    // 000000006614: DBFE8400 2400000E
	v_mfma_f32_16x16x32_f16 v[24:27], a[116:119], a[4:7], v[24:27]// 00000000661C: D3D40018 1C620974
	v_add_u32_e32 v4, s66, v4                                  // 000000006624: 68080842
	v_add_u32_e32 v5, s66, v5                                  // 000000006628: 680A0A42
	v_add_u32_e32 v6, s66, v6                                  // 00000000662C: 680C0C42
	v_add_u32_e32 v7, s66, v7                                  // 000000006630: 680E0E42
	v_mfma_f32_16x16x32_f16 v[24:27], a[120:123], a[8:11], v[24:27]// 000000006634: D3D40018 1C621178
	ds_read_b128 a[40:43], v14 offset:34816                    // 00000000663C: DBFE8800 2800000E
	ds_read_b128 a[44:47], v14 offset:35840                    // 000000006644: DBFE8C00 2C00000E
	v_mfma_f32_16x16x32_f16 v[24:27], a[124:127], a[12:15], v[24:27]// 00000000664C: D3D40018 1C62197C
	v_mul_f32_e32 v112, s47, v112                              // 000000006654: 0AE0E02F
	v_mul_f32_e32 v113, s47, v113                              // 000000006658: 0AE2E22F
	v_mfma_f32_16x16x32_f16 v[28:31], a[112:115], a[16:19], 0  // 00000000665C: D3D4001C 1A022170
	ds_read_b128 v[56:59], v14 offset:49152                    // 000000006664: D9FEC000 3800000E
	ds_read_b128 v[60:63], v14 offset:50176                    // 00000000666C: D9FEC400 3C00000E
	v_mfma_f32_16x16x32_f16 v[28:31], a[116:119], a[20:23], v[28:31]// 000000006674: D3D4001C 1C722974
	v_mul_f32_e32 v114, s47, v114                              // 00000000667C: 0AE4E42F
	v_mul_f32_e32 v115, s47, v115                              // 000000006680: 0AE6E62F
	s_waitcnt lgkmcnt(6)                                       // 000000006684: BF8CC67F
	v_mfma_f32_16x16x32_f16 v[28:31], a[120:123], a[24:27], v[28:31]// 000000006688: D3D4001C 1C723178
	ds_read_b128 v[64:67], v14 offset:51200                    // 000000006690: D9FEC800 4000000E
	ds_read_b128 v[68:71], v14 offset:52224                    // 000000006698: D9FECC00 4400000E
	v_mfma_f32_16x16x32_f16 v[28:31], a[124:127], a[28:31], v[28:31]// 0000000066A0: D3D4001C 1C72397C
	v_fma_f32 v24, v24, s57, -v104                             // 0000000066A8: D1CB0018 85A07318
	v_fma_f32 v25, v25, s57, -v105                             // 0000000066B0: D1CB0019 85A47319
	s_waitcnt lgkmcnt(6)                                       // 0000000066B8: BF8CC67F
	v_mfma_f32_16x16x32_f16 v[32:35], a[112:115], a[32:35], 0  // 0000000066BC: D3D40020 1A024170
	ds_read_b128 v[72:75], v9 offset:20480                     // 0000000066C4: D9FE5000 48000009
	ds_read_b128 v[76:79], v9 offset:21504                     // 0000000066CC: D9FE5400 4C000009
	v_mfma_f32_16x16x32_f16 v[32:35], a[116:119], a[36:39], v[32:35]// 0000000066D4: D3D40020 1C824974
	v_fma_f32 v26, v26, s57, -v106                             // 0000000066DC: D1CB001A 85A8731A
	v_fma_f32 v27, v27, s57, -v107                             // 0000000066E4: D1CB001B 85AC731B
	v_cvt_pk_f16_f32 v108, v108, v109                          // 0000000066EC: D267006C 0002DB6C
	v_cvt_pk_f16_f32 v109, v110, v111                          // 0000000066F4: D267006D 0002DF6E
	s_waitcnt lgkmcnt(6)                                       // 0000000066FC: BF8CC67F
	v_mfma_f32_16x16x32_f16 v[32:35], a[120:123], a[40:43], v[32:35]// 000000006700: D3D40020 1C825178
	ds_read_b128 v[80:83], v9 offset:22528                     // 000000006708: D9FE5800 50000009
	ds_read_b128 v[84:87], v9 offset:23552                     // 000000006710: D9FE5C00 54000009
	v_mfma_f32_16x16x32_f16 v[32:35], a[124:127], a[44:47], v[32:35]// 000000006718: D3D40020 1C82597C
	v_fma_f32 v28, v28, s57, -v104                             // 000000006720: D1CB001C 85A0731C
	v_fma_f32 v29, v29, s57, -v105                             // 000000006728: D1CB001D 85A4731D
	v_cvt_pk_f16_f32 v110, v112, v113                          // 000000006730: D267006E 0002E370
	v_cvt_pk_f16_f32 v111, v114, v115                          // 000000006738: D267006F 0002E772
	s_waitcnt lgkmcnt(6)                                       // 000000006740: BF8CC67F
	v_mfma_f32_16x16x32_f16 v[36:39], a[112:115], v[56:59], 0  // 000000006744: D3D40024 0A027170
	ds_read_b64_tr_b16 v[88:89], v10 offset:20480              // 00000000674C: D9C65000 5800000A
	ds_read_b64_tr_b16 v[90:91], v10 offset:20736              // 000000006754: D9C65100 5A00000A
	ds_read_b64_tr_b16 v[92:93], v10 offset:21504              // 00000000675C: D9C65400 5C00000A
	ds_read_b64_tr_b16 v[94:95], v10 offset:21760              // 000000006764: D9C65500 5E00000A
	v_mfma_f32_16x16x32_f16 v[36:39], a[116:119], v[60:63], v[36:39]// 00000000676C: D3D40024 0C927974
	v_fma_f32 v30, v30, s57, -v106                             // 000000006774: D1CB001E 85A8731E
	v_fma_f32 v31, v31, s57, -v107                             // 00000000677C: D1CB001F 85AC731F
	s_waitcnt lgkmcnt(8)                                       // 000000006784: BF8CC87F
	v_mfma_f32_16x16x32_f16 v[36:39], a[120:123], v[64:67], v[36:39]// 000000006788: D3D40024 0C928178
	ds_read_b64_tr_b16 v[96:97], v10 offset:22528              // 000000006790: D9C65800 6000000A
	ds_read_b64_tr_b16 v[98:99], v10 offset:22784              // 000000006798: D9C65900 6200000A
	ds_read_b64_tr_b16 v[100:101], v10 offset:23552            // 0000000067A0: D9C65C00 6400000A
	ds_read_b64_tr_b16 v[102:103], v10 offset:23808            // 0000000067A8: D9C65D00 6600000A
	v_mfma_f32_16x16x32_f16 v[36:39], a[124:127], v[68:71], v[36:39]// 0000000067B0: D3D40024 0C92897C
	v_fma_f32 v32, v32, s57, -v104                             // 0000000067B8: D1CB0020 85A07320
	v_fma_f32 v33, v33, s57, -v105                             // 0000000067C0: D1CB0021 85A47321
	v_fma_f32 v34, v34, s57, -v106                             // 0000000067C8: D1CB0022 85A87322
	v_fma_f32 v35, v35, s57, -v107                             // 0000000067D0: D1CB0023 85AC7323
	s_cmp_lt_i32 s74, 16                                       // 0000000067D8: BF04904A
	s_cbranch_scc0 label_0A97                                  // 0000000067DC: BF84009A
	s_mov_b32 s60, 0xffe0fffe                                  // 0000000067E0: BEBC00FF FFE0FFFE
	s_mov_b32 s61, 0xe000fe00                                  // 0000000067E8: BEBD00FF E000FE00
	s_nop 0                                                    // 0000000067F0: BF800000
	s_add_u32 s62, 0, s46                                      // 0000000067F4: 803E2E80
	s_cmp_lt_i32 s74, s62                                      // 0000000067F8: BF043E4A
	s_cbranch_scc1 label_0A32                                  // 0000000067FC: BF85002D
	s_cmp_eq_i32 s74, s62                                      // 000000006800: BF003E4A
	s_cbranch_scc1 label_0A17                                  // 000000006804: BF850010
	s_add_u32 s62, 4, s46                                      // 000000006808: 803E2E84
	s_cmp_lt_i32 s74, s62                                      // 00000000680C: BF043E4A
	s_cbranch_scc1 label_0A52                                  // 000000006810: BF850048
	s_cmp_eq_i32 s74, s62                                      // 000000006814: BF003E4A
	s_cbranch_scc1 label_0A37                                  // 000000006818: BF85002B
	s_add_u32 s62, 8, s46                                      // 00000000681C: 803E2E88
	s_cmp_lt_i32 s74, s62                                      // 000000006820: BF043E4A
	s_cbranch_scc1 label_0A72                                  // 000000006824: BF850063
	s_cmp_eq_i32 s74, s62                                      // 000000006828: BF003E4A
	s_cbranch_scc1 label_0A57                                  // 00000000682C: BF850046
	s_add_u32 s62, 12, s46                                     // 000000006830: 803E2E8C
	s_cmp_lt_i32 s74, s62                                      // 000000006834: BF043E4A
	s_cbranch_scc1 label_0A92                                  // 000000006838: BF85007E
	s_cmp_eq_i32 s74, s62                                      // 00000000683C: BF003E4A
	s_cbranch_scc1 label_0A77                                  // 000000006840: BF850061
	s_branch label_0A97                                        // 000000006844: BF820080

0000000000006848 <label_0A17>:
	v_cndmask_b32_e64 v24, v24, v125, s[60:61]                 // 000000006848: D1000018 00F2FB18
	s_lshl_b32 s60, s60, 1                                     // 000000006850: 8E3C813C
	s_lshl_b32 s61, s61, 1                                     // 000000006854: 8E3D813D
	s_and_b32 s60, 0xfffeffff, s60                             // 000000006858: 863C3CFF FFFEFFFF
	s_and_b32 s61, 0xfffeffff, s61                             // 000000006860: 863D3DFF FFFEFFFF
	v_cndmask_b32_e64 v25, v25, v125, s[60:61]                 // 000000006868: D1000019 00F2FB19
	s_lshl_b32 s60, s60, 1                                     // 000000006870: 8E3C813C
	s_lshl_b32 s61, s61, 1                                     // 000000006874: 8E3D813D
	s_and_b32 s60, 0xfffeffff, s60                             // 000000006878: 863C3CFF FFFEFFFF
	s_and_b32 s61, 0xfffeffff, s61                             // 000000006880: 863D3DFF FFFEFFFF
	v_cndmask_b32_e64 v26, v26, v125, s[60:61]                 // 000000006888: D100001A 00F2FB1A
	s_lshl_b32 s60, s60, 1                                     // 000000006890: 8E3C813C
	s_lshl_b32 s61, s61, 1                                     // 000000006894: 8E3D813D
	s_and_b32 s60, 0xfffeffff, s60                             // 000000006898: 863C3CFF FFFEFFFF
	s_and_b32 s61, 0xfffeffff, s61                             // 0000000068A0: 863D3DFF FFFEFFFF
	v_cndmask_b32_e64 v27, v27, v125, s[60:61]                 // 0000000068A8: D100001B 00F2FB1B
	s_branch label_0A52                                        // 0000000068B0: BF820020

00000000000068b4 <label_0A32>:
	v_mov_b32_e32 v24, v125                                    // 0000000068B4: 7E30037D
	v_mov_b32_e32 v25, v125                                    // 0000000068B8: 7E32037D
	v_mov_b32_e32 v26, v125                                    // 0000000068BC: 7E34037D
	v_mov_b32_e32 v27, v125                                    // 0000000068C0: 7E36037D
	s_branch label_0A52                                        // 0000000068C4: BF82001B

00000000000068c8 <label_0A37>:
	v_cndmask_b32_e64 v28, v28, v125, s[60:61]                 // 0000000068C8: D100001C 00F2FB1C
	s_lshl_b32 s60, s60, 1                                     // 0000000068D0: 8E3C813C
	s_lshl_b32 s61, s61, 1                                     // 0000000068D4: 8E3D813D
	s_and_b32 s60, 0xfffeffff, s60                             // 0000000068D8: 863C3CFF FFFEFFFF
	s_and_b32 s61, 0xfffeffff, s61                             // 0000000068E0: 863D3DFF FFFEFFFF
	v_cndmask_b32_e64 v29, v29, v125, s[60:61]                 // 0000000068E8: D100001D 00F2FB1D
	s_lshl_b32 s60, s60, 1                                     // 0000000068F0: 8E3C813C
	s_lshl_b32 s61, s61, 1                                     // 0000000068F4: 8E3D813D
	s_and_b32 s60, 0xfffeffff, s60                             // 0000000068F8: 863C3CFF FFFEFFFF
	s_and_b32 s61, 0xfffeffff, s61                             // 000000006900: 863D3DFF FFFEFFFF
	v_cndmask_b32_e64 v30, v30, v125, s[60:61]                 // 000000006908: D100001E 00F2FB1E
	s_lshl_b32 s60, s60, 1                                     // 000000006910: 8E3C813C
	s_lshl_b32 s61, s61, 1                                     // 000000006914: 8E3D813D
	s_and_b32 s60, 0xfffeffff, s60                             // 000000006918: 863C3CFF FFFEFFFF
	s_and_b32 s61, 0xfffeffff, s61                             // 000000006920: 863D3DFF FFFEFFFF
	v_cndmask_b32_e64 v31, v31, v125, s[60:61]                 // 000000006928: D100001F 00F2FB1F
	s_branch label_0A72                                        // 000000006930: BF820020

0000000000006934 <label_0A52>:
	v_mov_b32_e32 v28, v125                                    // 000000006934: 7E38037D
	v_mov_b32_e32 v29, v125                                    // 000000006938: 7E3A037D
	v_mov_b32_e32 v30, v125                                    // 00000000693C: 7E3C037D
	v_mov_b32_e32 v31, v125                                    // 000000006940: 7E3E037D
	s_branch label_0A72                                        // 000000006944: BF82001B

0000000000006948 <label_0A57>:
	v_cndmask_b32_e64 v32, v32, v125, s[60:61]                 // 000000006948: D1000020 00F2FB20
	s_lshl_b32 s60, s60, 1                                     // 000000006950: 8E3C813C
	s_lshl_b32 s61, s61, 1                                     // 000000006954: 8E3D813D
	s_and_b32 s60, 0xfffeffff, s60                             // 000000006958: 863C3CFF FFFEFFFF
	s_and_b32 s61, 0xfffeffff, s61                             // 000000006960: 863D3DFF FFFEFFFF
	v_cndmask_b32_e64 v33, v33, v125, s[60:61]                 // 000000006968: D1000021 00F2FB21
	s_lshl_b32 s60, s60, 1                                     // 000000006970: 8E3C813C
	s_lshl_b32 s61, s61, 1                                     // 000000006974: 8E3D813D
	s_and_b32 s60, 0xfffeffff, s60                             // 000000006978: 863C3CFF FFFEFFFF
	s_and_b32 s61, 0xfffeffff, s61                             // 000000006980: 863D3DFF FFFEFFFF
	v_cndmask_b32_e64 v34, v34, v125, s[60:61]                 // 000000006988: D1000022 00F2FB22
	s_lshl_b32 s60, s60, 1                                     // 000000006990: 8E3C813C
	s_lshl_b32 s61, s61, 1                                     // 000000006994: 8E3D813D
	s_and_b32 s60, 0xfffeffff, s60                             // 000000006998: 863C3CFF FFFEFFFF
	s_and_b32 s61, 0xfffeffff, s61                             // 0000000069A0: 863D3DFF FFFEFFFF
	v_cndmask_b32_e64 v35, v35, v125, s[60:61]                 // 0000000069A8: D1000023 00F2FB23
	s_branch label_0A92                                        // 0000000069B0: BF820020

00000000000069b4 <label_0A72>:
	v_mov_b32_e32 v32, v125                                    // 0000000069B4: 7E40037D
	v_mov_b32_e32 v33, v125                                    // 0000000069B8: 7E42037D
	v_mov_b32_e32 v34, v125                                    // 0000000069BC: 7E44037D
	v_mov_b32_e32 v35, v125                                    // 0000000069C0: 7E46037D
	s_branch label_0A92                                        // 0000000069C4: BF82001B

00000000000069c8 <label_0A77>:
	v_cndmask_b32_e64 v36, v36, v125, s[60:61]                 // 0000000069C8: D1000024 00F2FB24
	s_lshl_b32 s60, s60, 1                                     // 0000000069D0: 8E3C813C
	s_lshl_b32 s61, s61, 1                                     // 0000000069D4: 8E3D813D
	s_and_b32 s60, 0xfffeffff, s60                             // 0000000069D8: 863C3CFF FFFEFFFF
	s_and_b32 s61, 0xfffeffff, s61                             // 0000000069E0: 863D3DFF FFFEFFFF
	v_cndmask_b32_e64 v37, v37, v125, s[60:61]                 // 0000000069E8: D1000025 00F2FB25
	s_lshl_b32 s60, s60, 1                                     // 0000000069F0: 8E3C813C
	s_lshl_b32 s61, s61, 1                                     // 0000000069F4: 8E3D813D
	s_and_b32 s60, 0xfffeffff, s60                             // 0000000069F8: 863C3CFF FFFEFFFF
	s_and_b32 s61, 0xfffeffff, s61                             // 000000006A00: 863D3DFF FFFEFFFF
	v_cndmask_b32_e64 v38, v38, v125, s[60:61]                 // 000000006A08: D1000026 00F2FB26
	s_lshl_b32 s60, s60, 1                                     // 000000006A10: 8E3C813C
	s_lshl_b32 s61, s61, 1                                     // 000000006A14: 8E3D813D
	s_and_b32 s60, 0xfffeffff, s60                             // 000000006A18: 863C3CFF FFFEFFFF
	s_and_b32 s61, 0xfffeffff, s61                             // 000000006A20: 863D3DFF FFFEFFFF
	v_cndmask_b32_e64 v39, v39, v125, s[60:61]                 // 000000006A28: D1000027 00F2FB27
	s_branch label_0A97                                        // 000000006A30: BF820005

0000000000006a34 <label_0A92>:
	v_mov_b32_e32 v36, v125                                    // 000000006A34: 7E48037D
	v_mov_b32_e32 v37, v125                                    // 000000006A38: 7E4A037D
	v_mov_b32_e32 v38, v125                                    // 000000006A3C: 7E4C037D
	v_mov_b32_e32 v39, v125                                    // 000000006A40: 7E4E037D
	s_branch label_0A97                                        // 000000006A44: BF820000

0000000000006a48 <label_0A97>:
	s_cmp_lt_i32 s99, 0x100                                    // 000000006A48: BF04FF63 00000100
	s_cbranch_scc0 label_0B08                                  // 000000006A50: BF840069
	s_cmp_le_i32 s99, 64                                       // 000000006A54: BF05C063
	s_cbranch_scc1 label_0AA6                                  // 000000006A58: BF85000A
	s_cmp_le_i32 s99, 0x80                                     // 000000006A5C: BF05FF63 00000080
	s_cbranch_scc1 label_0ABE                                  // 000000006A64: BF85001A
	s_cmp_lt_i32 s99, 0xc0                                     // 000000006A68: BF04FF63 000000C0
	s_cbranch_scc1 label_0AD6                                  // 000000006A70: BF85002F
	s_cmp_lt_i32 s99, 0x100                                    // 000000006A74: BF04FF63 00000100
	s_cbranch_scc1 label_0AEF                                  // 000000006A7C: BF850045
	s_branch label_0B08                                        // 000000006A80: BF82005D

0000000000006a84 <label_0AA6>:
	s_mov_b32 s60, 0                                           // 000000006A84: BEBC0080
	v_and_b32_e32 v20, 15, v0                                  // 000000006A88: 2628008F
	v_add_u32_e64 v20, v20, s60                                // 000000006A8C: D1340014 00007914
	v_mul_i32_i24_e64 v21, s46, 16                             // 000000006A94: D1060015 0001202E
	v_add_u32_e32 v20, v20, v21                                // 000000006A9C: 68282B14
	v_cmp_lt_u32_e64 s[60:61], v20, s99                        // 000000006AA0: D0C9003C 0000C714
	s_nop 1                                                    // 000000006AA8: BF800001
	v_cndmask_b32_e64 v24, v125, v24, s[60:61]                 // 000000006AAC: D1000018 00F2317D
	v_cndmask_b32_e64 v25, v125, v25, s[60:61]                 // 000000006AB4: D1000019 00F2337D
	v_cndmask_b32_e64 v26, v125, v26, s[60:61]                 // 000000006ABC: D100001A 00F2357D
	v_cndmask_b32_e64 v27, v125, v27, s[60:61]                 // 000000006AC4: D100001B 00F2377D
	s_branch label_0AD1                                        // 000000006ACC: BF820013

0000000000006ad0 <label_0ABE>:
	s_mov_b32 s60, 64                                          // 000000006AD0: BEBC00C0
	v_and_b32_e32 v20, 15, v0                                  // 000000006AD4: 2628008F
	v_add_u32_e64 v20, v20, s60                                // 000000006AD8: D1340014 00007914
	v_mul_i32_i24_e64 v21, s46, 16                             // 000000006AE0: D1060015 0001202E
	v_add_u32_e32 v20, v20, v21                                // 000000006AE8: 68282B14
	v_cmp_lt_u32_e64 s[60:61], v20, s99                        // 000000006AEC: D0C9003C 0000C714
	s_nop 1                                                    // 000000006AF4: BF800001
	v_cndmask_b32_e64 v28, v125, v28, s[60:61]                 // 000000006AF8: D100001C 00F2397D
	v_cndmask_b32_e64 v29, v125, v29, s[60:61]                 // 000000006B00: D100001D 00F23B7D
	v_cndmask_b32_e64 v30, v125, v30, s[60:61]                 // 000000006B08: D100001E 00F23D7D
	v_cndmask_b32_e64 v31, v125, v31, s[60:61]                 // 000000006B10: D100001F 00F23F7D
	s_branch label_0AEA                                        // 000000006B18: BF820019

0000000000006b1c <label_0AD1>:
	v_mov_b32_e32 v28, v125                                    // 000000006B1C: 7E38037D
	v_mov_b32_e32 v29, v125                                    // 000000006B20: 7E3A037D
	v_mov_b32_e32 v30, v125                                    // 000000006B24: 7E3C037D
	v_mov_b32_e32 v31, v125                                    // 000000006B28: 7E3E037D
	s_branch label_0AEA                                        // 000000006B2C: BF820014

0000000000006b30 <label_0AD6>:
	s_mov_b32 s60, 0x80                                        // 000000006B30: BEBC00FF 00000080
	v_and_b32_e32 v20, 15, v0                                  // 000000006B38: 2628008F
	v_add_u32_e64 v20, v20, s60                                // 000000006B3C: D1340014 00007914
	v_mul_i32_i24_e64 v21, s46, 16                             // 000000006B44: D1060015 0001202E
	v_add_u32_e32 v20, v20, v21                                // 000000006B4C: 68282B14
	v_cmp_lt_u32_e64 s[60:61], v20, s99                        // 000000006B50: D0C9003C 0000C714
	s_nop 1                                                    // 000000006B58: BF800001
	v_cndmask_b32_e64 v32, v125, v32, s[60:61]                 // 000000006B5C: D1000020 00F2417D
	v_cndmask_b32_e64 v33, v125, v33, s[60:61]                 // 000000006B64: D1000021 00F2437D
	v_cndmask_b32_e64 v34, v125, v34, s[60:61]                 // 000000006B6C: D1000022 00F2457D
	v_cndmask_b32_e64 v35, v125, v35, s[60:61]                 // 000000006B74: D1000023 00F2477D
	s_branch label_0B03                                        // 000000006B7C: BF820019

0000000000006b80 <label_0AEA>:
	v_mov_b32_e32 v32, v125                                    // 000000006B80: 7E40037D
	v_mov_b32_e32 v33, v125                                    // 000000006B84: 7E42037D
	v_mov_b32_e32 v34, v125                                    // 000000006B88: 7E44037D
	v_mov_b32_e32 v35, v125                                    // 000000006B8C: 7E46037D
	s_branch label_0B03                                        // 000000006B90: BF820014

0000000000006b94 <label_0AEF>:
	s_mov_b32 s60, 0xc0                                        // 000000006B94: BEBC00FF 000000C0
	v_and_b32_e32 v20, 15, v0                                  // 000000006B9C: 2628008F
	v_add_u32_e64 v20, v20, s60                                // 000000006BA0: D1340014 00007914
	v_mul_i32_i24_e64 v21, s46, 16                             // 000000006BA8: D1060015 0001202E
	v_add_u32_e32 v20, v20, v21                                // 000000006BB0: 68282B14
	v_cmp_lt_u32_e64 s[60:61], v20, s99                        // 000000006BB4: D0C9003C 0000C714
	s_nop 1                                                    // 000000006BBC: BF800001
	v_cndmask_b32_e64 v36, v125, v36, s[60:61]                 // 000000006BC0: D1000024 00F2497D
	v_cndmask_b32_e64 v37, v125, v37, s[60:61]                 // 000000006BC8: D1000025 00F24B7D
	v_cndmask_b32_e64 v38, v125, v38, s[60:61]                 // 000000006BD0: D1000026 00F24D7D
	v_cndmask_b32_e64 v39, v125, v39, s[60:61]                 // 000000006BD8: D1000027 00F24F7D
	s_branch label_0B08                                        // 000000006BE0: BF820005

0000000000006be4 <label_0B03>:
	v_mov_b32_e32 v36, v125                                    // 000000006BE4: 7E48037D
	v_mov_b32_e32 v37, v125                                    // 000000006BE8: 7E4A037D
	v_mov_b32_e32 v38, v125                                    // 000000006BEC: 7E4C037D
	v_mov_b32_e32 v39, v125                                    // 000000006BF0: 7E4E037D
	s_branch label_0B08                                        // 000000006BF4: BF820000

0000000000006bf8 <label_0B08>:
	s_addk_i32 s74, 0x1                                        // 000000006BF8: B74A0001
	s_waitcnt lgkmcnt(8)                                       // 000000006BFC: BF8CC87F
	v_mfma_f32_16x16x32_f16 v[56:59], v[72:75], a[48:51], 0    // 000000006C00: D3D40038 12026148
	v_exp_f32_e32 v24, v24                                     // 000000006C08: 7E304118
	v_exp_f32_e32 v25, v25                                     // 000000006C0C: 7E324119
	v_mfma_f32_16x16x32_f16 v[56:59], v[76:79], a[52:55], v[56:59]// 000000006C10: D3D40038 14E2694C
	v_exp_f32_e32 v26, v26                                     // 000000006C18: 7E34411A
	v_exp_f32_e32 v27, v27                                     // 000000006C1C: 7E36411B
	v_mfma_f32_16x16x32_f16 v[56:59], v[80:83], a[56:59], v[56:59]// 000000006C20: D3D40038 14E27150
	ds_read_b64_tr_b16 a[112:113], v10 offset:4096             // 000000006C28: DBC61000 7000000A
	ds_read_b64_tr_b16 a[114:115], v10 offset:4352             // 000000006C30: DBC61100 7200000A
	v_mfma_f32_16x16x32_f16 v[56:59], v[84:87], a[60:63], v[56:59]// 000000006C38: D3D40038 14E27954
	v_fma_f32 v36, v36, s57, -v104                             // 000000006C40: D1CB0024 85A07324
	v_fma_f32 v37, v37, s57, -v105                             // 000000006C48: D1CB0025 85A47325
	v_exp_f32_e32 v28, v28                                     // 000000006C50: 7E38411C
	v_exp_f32_e32 v29, v29                                     // 000000006C54: 7E3A411D
	v_mfma_f32_16x16x32_f16 v[60:63], v[72:75], a[64:67], 0    // 000000006C58: D3D4003C 12028148
	ds_read_b64_tr_b16 a[116:117], v10 offset:5120             // 000000006C60: DBC61400 7400000A
	ds_read_b64_tr_b16 a[118:119], v10 offset:5376             // 000000006C68: DBC61500 7600000A
	v_mfma_f32_16x16x32_f16 v[60:63], v[76:79], a[68:71], v[60:63]// 000000006C70: D3D4003C 14F2894C
	v_fma_f32 v38, v38, s57, -v106                             // 000000006C78: D1CB0026 85A87326
	v_fma_f32 v39, v39, s57, -v107                             // 000000006C80: D1CB0027 85AC7327
	v_exp_f32_e32 v30, v30                                     // 000000006C88: 7E3C411E
	v_exp_f32_e32 v31, v31                                     // 000000006C8C: 7E3E411F
	v_mfma_f32_16x16x32_f16 v[60:63], v[80:83], a[72:75], v[60:63]// 000000006C90: D3D4003C 14F29150
	v_exp_f32_e32 v32, v32                                     // 000000006C98: 7E404120
	v_exp_f32_e32 v33, v33                                     // 000000006C9C: 7E424121
	v_mfma_f32_16x16x32_f16 v[60:63], v[84:87], a[76:79], v[60:63]// 000000006CA0: D3D4003C 14F29954
	v_cvt_pk_f16_f32 v116, v24, v25                            // 000000006CA8: D2670074 00023318
	v_cvt_pk_f16_f32 v117, v26, v27                            // 000000006CB0: D2670075 0002371A
	v_exp_f32_e32 v34, v34                                     // 000000006CB8: 7E444122
	v_mfma_f32_16x16x32_f16 v[64:67], v[72:75], a[80:83], 0    // 000000006CBC: D3D40040 1202A148
	v_exp_f32_e32 v35, v35                                     // 000000006CC4: 7E464123
	v_exp_f32_e32 v36, v36                                     // 000000006CC8: 7E484124
	v_mfma_f32_16x16x32_f16 v[64:67], v[76:79], a[84:87], v[64:67]// 000000006CCC: D3D40040 1502A94C
	v_cvt_pk_f16_f32 v118, v28, v29                            // 000000006CD4: D2670076 00023B1C
	v_cvt_pk_f16_f32 v119, v30, v31                            // 000000006CDC: D2670077 00023F1E
	v_exp_f32_e32 v37, v37                                     // 000000006CE4: 7E4A4125
	v_mfma_f32_16x16x32_f16 v[64:67], v[80:83], a[88:91], v[64:67]// 000000006CE8: D3D40040 1502B150
	ds_read_b64_tr_b16 a[120:121], v10 offset:6144             // 000000006CF0: DBC61800 7800000A
	ds_read_b64_tr_b16 a[122:123], v10 offset:6400             // 000000006CF8: DBC61900 7A00000A
	v_mfma_f32_16x16x32_f16 v[64:67], v[84:87], a[92:95], v[64:67]// 000000006D00: D3D40040 1502B954
	v_exp_f32_e32 v38, v38                                     // 000000006D08: 7E4C4126
	v_exp_f32_e32 v39, v39                                     // 000000006D0C: 7E4E4127
	v_permlane16_swap_b32_e32 v116, v118                       // 000000006D10: 7EE8B376
	v_mfma_f32_16x16x32_f16 v[68:71], v[72:75], a[96:99], 0    // 000000006D14: D3D40044 1202C148
	ds_read_b64_tr_b16 a[124:125], v10 offset:7168             // 000000006D1C: DBC61C00 7C00000A
	ds_read_b64_tr_b16 a[126:127], v10 offset:7424             // 000000006D24: DBC61D00 7E00000A
	v_mfma_f32_16x16x32_f16 v[68:71], v[76:79], a[100:103], v[68:71]// 000000006D2C: D3D40044 1512C94C
	v_cvt_pk_f16_f32 v120, v32, v33                            // 000000006D34: D2670078 00024320
	v_cvt_pk_f16_f32 v121, v34, v35                            // 000000006D3C: D2670079 00024722
	v_cvt_pk_f16_f32 v122, v36, v37                            // 000000006D44: D267007A 00024B24
	v_cvt_pk_f16_f32 v123, v38, v39                            // 000000006D4C: D267007B 00024F26
	v_permlane16_swap_b32_e32 v117, v119                       // 000000006D54: 7EEAB377
	v_mfma_f32_16x16x32_f16 v[68:71], v[80:83], a[104:107], v[68:71]// 000000006D58: D3D40044 1512D150
	v_permlane16_swap_b32_e32 v120, v122                       // 000000006D60: 7EF0B37A
	v_mfma_f32_16x16x32_f16 v[68:71], v[84:87], a[108:111], v[68:71]// 000000006D64: D3D40044 1512D954
	v_permlane16_swap_b32_e32 v121, v123                       // 000000006D6C: 7EF2B37B
	s_waitcnt lgkmcnt(8)                                       // 000000006D70: BF8CC87F
	v_mfma_f32_32x32x16_f16 v[126:141], v[88:91], v[116:119], v[126:141]// 000000006D74: D3D5007E 05FAE958
	ds_read_b64_tr_b16 a[0:1], v15                             // 000000006D7C: DBC60000 0000000F
	ds_read_b64_tr_b16 a[2:3], v15 offset:256                  // 000000006D84: DBC60100 0200000F
	ds_read_b64_tr_b16 a[4:5], v16                             // 000000006D8C: DBC60000 04000010
	ds_read_b64_tr_b16 a[6:7], v16 offset:256                  // 000000006D94: DBC60100 06000010
	buffer_atomic_pk_add_f16 v108, v4, s[32:35], 0 offen       // 000000006D9C: E1381000 80086C04
	v_mfma_f32_32x32x16_f16 v[142:157], v[92:95], v[116:119], v[142:157]// 000000006DA4: D3D5008E 063AE95C
	v_subrev_f32_dpp v56, v124, v56 quad_perm:[0,0,0,0] row_mask:0xf bank_mask:0xf// 000000006DAC: 067070FA FF00007C
	v_subrev_f32_dpp v57, v124, v57 quad_perm:[1,1,1,1] row_mask:0xf bank_mask:0xf// 000000006DB4: 067272FA FF00557C
	v_subrev_f32_dpp v58, v124, v58 quad_perm:[2,2,2,2] row_mask:0xf bank_mask:0xf// 000000006DBC: 067474FA FF00AA7C
	v_subrev_f32_dpp v59, v124, v59 quad_perm:[3,3,3,3] row_mask:0xf bank_mask:0xf// 000000006DC4: 067676FA FF00FF7C
	v_subrev_f32_dpp v60, v124, v60 quad_perm:[0,0,0,0] row_mask:0xf bank_mask:0xf// 000000006DCC: 067878FA FF00007C
	v_subrev_f32_dpp v61, v124, v61 quad_perm:[1,1,1,1] row_mask:0xf bank_mask:0xf// 000000006DD4: 067A7AFA FF00557C
	v_subrev_f32_dpp v62, v124, v62 quad_perm:[2,2,2,2] row_mask:0xf bank_mask:0xf// 000000006DDC: 067C7CFA FF00AA7C
	v_subrev_f32_dpp v63, v124, v63 quad_perm:[3,3,3,3] row_mask:0xf bank_mask:0xf// 000000006DE4: 067E7EFA FF00FF7C
	v_mul_f32_e32 v56, v24, v56                                // 000000006DEC: 0A707118
	v_mul_f32_e32 v57, v25, v57                                // 000000006DF0: 0A727319
	v_mfma_f32_32x32x16_f16 v[158:173], v[96:99], v[116:119], v[158:173]// 000000006DF4: D3D5009E 067AE960
	ds_read_b64_tr_b16 a[8:9], v15 offset:8192                 // 000000006DFC: DBC62000 0800000F
	ds_read_b64_tr_b16 a[10:11], v15 offset:8448               // 000000006E04: DBC62100 0A00000F
	ds_read_b64_tr_b16 a[12:13], v16 offset:8192               // 000000006E0C: DBC62000 0C000010
	ds_read_b64_tr_b16 a[14:15], v16 offset:8448               // 000000006E14: DBC62100 0E000010
	v_mfma_f32_32x32x16_f16 v[174:189], v[100:103], v[116:119], v[174:189]// 000000006E1C: D3D500AE 06BAE964
	v_mul_f32_e32 v58, v26, v58                                // 000000006E24: 0A74751A
	v_mul_f32_e32 v59, v27, v59                                // 000000006E28: 0A76771B
	v_mul_f32_e32 v60, v28, v60                                // 000000006E2C: 0A78791C
	v_mul_f32_e32 v61, v29, v61                                // 000000006E30: 0A7A7B1D
	v_mul_f32_e32 v62, v30, v62                                // 000000006E34: 0A7C7D1E
	v_mul_f32_e32 v63, v31, v63                                // 000000006E38: 0A7E7F1F
	v_cvt_pk_f16_f32 v56, v56, v57                             // 000000006E3C: D2670038 00027338
	v_cvt_pk_f16_f32 v57, v58, v59                             // 000000006E44: D2670039 0002773A
	v_cvt_pk_f16_f32 v58, v60, v61                             // 000000006E4C: D267003A 00027B3C
	v_cvt_pk_f16_f32 v59, v62, v63                             // 000000006E54: D267003B 00027F3E
	v_subrev_f32_dpp v64, v124, v64 quad_perm:[0,0,0,0] row_mask:0xf bank_mask:0xf// 000000006E5C: 068080FA FF00007C
	v_subrev_f32_dpp v65, v124, v65 quad_perm:[1,1,1,1] row_mask:0xf bank_mask:0xf// 000000006E64: 068282FA FF00557C
	v_subrev_f32_dpp v66, v124, v66 quad_perm:[2,2,2,2] row_mask:0xf bank_mask:0xf// 000000006E6C: 068484FA FF00AA7C
	v_subrev_f32_dpp v67, v124, v67 quad_perm:[3,3,3,3] row_mask:0xf bank_mask:0xf// 000000006E74: 068686FA FF00FF7C
	v_mfma_f32_32x32x16_f16 v[190:205], v[88:91], v[120:123], v[190:205]// 000000006E7C: D3D500BE 06FAF158
	ds_read_b64_tr_b16 a[16:17], v15 offset:16384              // 000000006E84: DBC64000 1000000F
	ds_read_b64_tr_b16 a[18:19], v15 offset:16640              // 000000006E8C: DBC64100 1200000F
	ds_write_b64 v12, v[56:57] offset:32768                    // 000000006E94: D89A8000 0000380C
	ds_write_b64 v12, v[58:59] offset:35072                    // 000000006E9C: D89A8900 00003A0C
	buffer_atomic_pk_add_f16 v109, v5, s[32:35], 0 offen       // 000000006EA4: E1381000 80086D05
	v_mfma_f32_32x32x16_f16 v[206:221], v[92:95], v[120:123], v[206:221]// 000000006EAC: D3D500CE 073AF15C
	v_subrev_f32_dpp v68, v124, v68 quad_perm:[0,0,0,0] row_mask:0xf bank_mask:0xf// 000000006EB4: 068888FA FF00007C
	v_subrev_f32_dpp v69, v124, v69 quad_perm:[1,1,1,1] row_mask:0xf bank_mask:0xf// 000000006EBC: 068A8AFA FF00557C
	v_subrev_f32_dpp v70, v124, v70 quad_perm:[2,2,2,2] row_mask:0xf bank_mask:0xf// 000000006EC4: 068C8CFA FF00AA7C
	v_subrev_f32_dpp v71, v124, v71 quad_perm:[3,3,3,3] row_mask:0xf bank_mask:0xf// 000000006ECC: 068E8EFA FF00FF7C
	v_mul_f32_e32 v64, v32, v64                                // 000000006ED4: 0A808120
	v_mul_f32_e32 v65, v33, v65                                // 000000006ED8: 0A828321
	v_mul_f32_e32 v66, v34, v66                                // 000000006EDC: 0A848522
	v_mul_f32_e32 v67, v35, v67                                // 000000006EE0: 0A868723
	v_mul_f32_e32 v68, v36, v68                                // 000000006EE4: 0A888924
	v_mul_f32_e32 v69, v37, v69                                // 000000006EE8: 0A8A8B25
	v_mul_f32_e32 v70, v38, v70                                // 000000006EEC: 0A8C8D26
	v_mul_f32_e32 v71, v39, v71                                // 000000006EF0: 0A8E8F27
	v_cvt_pk_f16_f32 v60, v64, v65                             // 000000006EF4: D267003C 00028340
	v_cvt_pk_f16_f32 v61, v66, v67                             // 000000006EFC: D267003D 00028742
	v_cvt_pk_f16_f32 v62, v68, v69                             // 000000006F04: D267003E 00028B44
	v_cvt_pk_f16_f32 v63, v70, v71                             // 000000006F0C: D267003F 00028F46
	v_mfma_f32_32x32x16_f16 v[222:237], v[96:99], v[120:123], v[222:237]// 000000006F14: D3D500DE 077AF160
	ds_read_b32 v104, v13 offset:43008                         // 000000006F1C: D86CA800 6800000D
	ds_read_b32 v124, v13 offset:43264                         // 000000006F24: D86CA900 7C00000D
	ds_write_b64 v12, v[60:61] offset:37376                    // 000000006F2C: D89A9200 00003C0C
	ds_write_b64 v12, v[62:63] offset:39680                    // 000000006F34: D89A9B00 00003E0C
	v_mfma_f32_32x32x16_f16 v[238:253], v[100:103], v[120:123], v[238:253]// 000000006F3C: D3D500EE 07BAF164
	v_permlane16_swap_b32_e32 v56, v58                         // 000000006F44: 7E70B33A
	v_permlane16_swap_b32_e32 v57, v59                         // 000000006F48: 7E72B33B
	s_nop 1                                                    // 000000006F4C: BF800001
	s_waitcnt lgkmcnt(12)                                      // 000000006F50: BF8CCC7F
	v_mfma_f32_32x32x16_f16 a[128:143], a[112:115], v[56:59], a[128:143]// 000000006F54: D3D58080 0E027170
	ds_read_b64_tr_b16 a[20:21], v16 offset:16384              // 000000006F5C: DBC64000 14000010
	ds_read_b64_tr_b16 a[22:23], v16 offset:16640              // 000000006F64: DBC64100 16000010
	ds_read_b64_tr_b16 a[24:25], v15 offset:24576              // 000000006F6C: DBC66000 1800000F
	ds_read_b64_tr_b16 a[26:27], v15 offset:24832              // 000000006F74: DBC66100 1A00000F
	ds_read_b64_tr_b16 a[28:29], v16 offset:24576              // 000000006F7C: DBC66000 1C000010
	ds_read_b64_tr_b16 a[30:31], v16 offset:24832              // 000000006F84: DBC66100 1E000010
	ds_read_b64_tr_b16 a[32:33], v15 offset:32768              // 000000006F8C: DBC68000 2000000F
	ds_read_b64_tr_b16 a[34:35], v15 offset:33024              // 000000006F94: DBC68100 2200000F
	v_mfma_f32_32x32x16_f16 a[144:159], a[116:119], v[56:59], a[144:159]// 000000006F9C: D3D58090 0E427174
	v_permlane16_swap_b32_e32 v60, v62                         // 000000006FA4: 7E78B33E
	buffer_atomic_pk_add_f16 v110, v6, s[32:35], 0 offen       // 000000006FA8: E1381000 80086E06
	s_waitcnt lgkmcnt(8)                                       // 000000006FB0: BF8CC87F
	s_barrier                                                  // 000000006FB4: BF8A0000
	v_mfma_f32_32x32x16_f16 a[160:175], a[120:123], v[56:59], a[160:175]// 000000006FB8: D3D580A0 0E827178
	ds_read_b64_tr_b16 v[24:25], v11 offset:32768              // 000000006FC0: D9C68000 1800000B
	ds_read_b64_tr_b16 v[26:27], v11 offset:32800              // 000000006FC8: D9C68020 1A00000B
	ds_read_b64_tr_b16 v[28:29], v11 offset:33920              // 000000006FD0: D9C68480 1C00000B
	ds_read_b64_tr_b16 v[30:31], v11 offset:33952              // 000000006FD8: D9C684A0 1E00000B
	ds_read_b64_tr_b16 v[32:33], v11 offset:35072              // 000000006FE0: D9C68900 2000000B
	ds_read_b64_tr_b16 v[34:35], v11 offset:35104              // 000000006FE8: D9C68920 2200000B
	ds_read_b64_tr_b16 v[36:37], v11 offset:36224              // 000000006FF0: D9C68D80 2400000B
	ds_read_b64_tr_b16 v[38:39], v11 offset:36256              // 000000006FF8: D9C68DA0 2600000B
	v_mfma_f32_32x32x16_f16 a[176:191], a[124:127], v[56:59], a[176:191]// 000000007000: D3D580B0 0EC2717C
	v_permlane16_swap_b32_e32 v61, v63                         // 000000007008: 7E7AB33F
	v_mul_f32_e32 v104, s48, v104                              // 00000000700C: 0AD0D030
	v_mfma_f32_32x32x16_f16 a[192:207], a[112:115], v[60:63], a[192:207]// 000000007010: D3D580C0 0F027970
	ds_read_b64_tr_b16 v[40:41], v11 offset:37376              // 000000007018: D9C69200 2800000B
	ds_read_b64_tr_b16 v[42:43], v11 offset:37408              // 000000007020: D9C69220 2A00000B
	ds_read_b64_tr_b16 v[44:45], v11 offset:38528              // 000000007028: D9C69680 2C00000B
	ds_read_b64_tr_b16 v[46:47], v11 offset:38560              // 000000007030: D9C696A0 2E00000B
	ds_read_b64_tr_b16 a[36:37], v16 offset:32768              // 000000007038: DBC68000 24000010
	ds_read_b64_tr_b16 a[38:39], v16 offset:33024              // 000000007040: DBC68100 26000010
	ds_read_b64_tr_b16 a[40:41], v15 offset:40960              // 000000007048: DBC6A000 2800000F
	ds_read_b64_tr_b16 a[42:43], v15 offset:41216              // 000000007050: DBC6A100 2A00000F
	v_mfma_f32_32x32x16_f16 a[208:223], a[116:119], v[60:63], a[208:223]// 000000007058: D3D580D0 0F427974
	v_mov_b32_dpp v107, v104 quad_perm:[3,3,3,3] row_mask:0xf bank_mask:0xf// 000000007060: 7ED602FA FF00FF68
	v_mov_b32_dpp v106, v104 quad_perm:[2,2,2,2] row_mask:0xf bank_mask:0xf// 000000007068: 7ED402FA FF00AA68
	buffer_atomic_pk_add_f16 v111, v7, s[32:35], 0 offen       // 000000007070: E1381000 80086F07
	v_mfma_f32_32x32x16_f16 a[224:239], a[120:123], v[60:63], a[224:239]// 000000007078: D3D580E0 0F827978
	ds_read_b64_tr_b16 v[48:49], v11 offset:39680              // 000000007080: D9C69B00 3000000B
	ds_read_b64_tr_b16 v[50:51], v11 offset:39712              // 000000007088: D9C69B20 3200000B
	ds_read_b64_tr_b16 v[52:53], v11 offset:40832              // 000000007090: D9C69F80 3400000B
	ds_read_b64_tr_b16 v[54:55], v11 offset:40864              // 000000007098: D9C69FA0 3600000B
	ds_read_b64_tr_b16 a[44:45], v16 offset:40960              // 0000000070A0: DBC6A000 2C000010
	ds_read_b64_tr_b16 a[46:47], v16 offset:41216              // 0000000070A8: DBC6A100 2E000010
	v_mfma_f32_32x32x16_f16 a[240:255], a[124:127], v[60:63], a[240:255]// 0000000070B0: D3D580F0 0FC2797C
	v_mov_b32_dpp v105, v104 quad_perm:[1,1,1,1] row_mask:0xf bank_mask:0xf// 0000000070B8: 7ED202FA FF005568
	v_mov_b32_dpp v104, v104 quad_perm:[0,0,0,0] row_mask:0xf bank_mask:0xf// 0000000070C0: 7ED002FA FF000068
	s_waitcnt vmcnt(4) lgkmcnt(6)                              // 0000000070C8: BF8C0674
	s_barrier                                                  // 0000000070CC: BF8A0000
	v_mfma_f32_16x16x32_f16 v[108:111], a[0:3], v[24:27], 0    // 0000000070D0: D3D4006C 0A023100
	ds_read_b64_tr_b16 v[56:57], v15 offset:49152              // 0000000070D8: D9C6C000 3800000F
	ds_read_b64_tr_b16 v[58:59], v15 offset:49408              // 0000000070E0: D9C6C100 3A00000F
	ds_read_b64_tr_b16 v[60:61], v16 offset:49152              // 0000000070E8: D9C6C000 3C000010
	ds_read_b64_tr_b16 v[62:63], v16 offset:49408              // 0000000070F0: D9C6C100 3E000010
	v_mfma_f32_16x16x32_f16 v[108:111], a[8:11], v[28:31], v[108:111]// 0000000070F8: D3D4006C 0DB23908
	s_mov_b32 m0, s82                                          // 000000007100: BEFC0052
	buffer_load_dwordx4 v1, s[8:11], 0 idxen lds               // 000000007104: E05D2000 80020001
	v_mfma_f32_16x16x32_f16 v[108:111], a[16:19], v[32:35], v[108:111]// 00000000710C: D3D4006C 0DB24110
	ds_read_b64_tr_b16 v[64:65], v15 offset:57344              // 000000007114: D9C6E000 4000000F
	ds_read_b64_tr_b16 v[66:67], v15 offset:57600              // 00000000711C: D9C6E100 4200000F
	ds_read_b64_tr_b16 v[68:69], v16 offset:57344              // 000000007124: D9C6E000 44000010
	ds_read_b64_tr_b16 v[70:71], v16 offset:57600              // 00000000712C: D9C6E100 46000010
	v_mfma_f32_16x16x32_f16 v[108:111], a[24:27], v[36:39], v[108:111]// 000000007134: D3D4006C 0DB24918
	s_mov_b32 m0, s86                                          // 00000000713C: BEFC0056
	buffer_load_dwordx4 v254, s[20:23], 0 idxen lds            // 000000007140: E05D2000 800500FE
	v_mfma_f32_16x16x32_f16 v[108:111], a[32:35], v[40:43], v[108:111]// 000000007148: D3D4006C 0DB25120
	ds_read_b128 a[112:115], v9 offset:8192                    // 000000007150: DBFE2000 70000009
	ds_read_b128 a[116:119], v9 offset:9216                    // 000000007158: DBFE2400 74000009
	v_mfma_f32_16x16x32_f16 v[108:111], a[40:43], v[44:47], v[108:111]// 000000007160: D3D4006C 0DB25928
	s_mov_b32 m0, s78                                          // 000000007168: BEFC004E
	buffer_load_dword v8, s[24:27], 0 idxen lds                // 00000000716C: E0512000 80060008
	s_waitcnt lgkmcnt(4)                                       // 000000007174: BF8CC47F
	s_barrier                                                  // 000000007178: BF8A0000
	v_mfma_f32_16x16x32_f16 v[108:111], v[56:59], v[48:51], v[108:111]// 00000000717C: D3D4006C 05B26138
	ds_read_b128 a[120:123], v9 offset:10240                   // 000000007184: DBFE2800 78000009
	ds_read_b128 a[124:127], v9 offset:11264                   // 00000000718C: DBFE2C00 7C000009
	v_mfma_f32_16x16x32_f16 v[108:111], v[64:67], v[52:55], v[108:111]// 000000007194: D3D4006C 05B26940
	s_add_u32 s60, 64, s59                                     // 00000000719C: 803C3BC0
	s_cmp_lt_u32 s60, s58                                      // 0000000071A0: BF0A3A3C
	s_cselect_b32 s68, s68, 0                                  // 0000000071A4: 85448044
	s_cselect_b32 s98, s98, 0                                  // 0000000071A8: 85628062
	s_cselect_b32 s69, s69, 0                                  // 0000000071AC: 85458045
	v_mfma_f32_16x16x32_f16 v[112:115], a[4:7], v[24:27], 0    // 0000000071B0: D3D40070 0A023104
	ds_read_b128 a[0:3], v14                                   // 0000000071B8: DBFE0000 0000000E
	ds_read_b128 a[4:7], v14 offset:1024                       // 0000000071C0: DBFE0400 0400000E
	v_mfma_f32_16x16x32_f16 v[112:115], a[12:15], v[28:31], v[112:115]// 0000000071C8: D3D40070 0DC2390C
	v_add_u32_e32 v1, s68, v1                                  // 0000000071D0: 68020244
	v_add_u32_e32 v254, s98, v254                              // 0000000071D4: 69FDFC62
	v_add_u32_e32 v8, s69, v8                                  // 0000000071D8: 68101045
	v_mfma_f32_16x16x32_f16 v[112:115], a[20:23], v[32:35], v[112:115]// 0000000071DC: D3D40070 0DC24114
	ds_read_b128 a[8:11], v14 offset:2048                      // 0000000071E4: DBFE0800 0800000E
	ds_read_b128 a[12:15], v14 offset:3072                     // 0000000071EC: DBFE0C00 0C00000E
	v_mfma_f32_16x16x32_f16 v[112:115], a[28:31], v[36:39], v[112:115]// 0000000071F4: D3D40070 0DC2491C
	v_mul_f32_e32 v108, s47, v108                              // 0000000071FC: 0AD8D82F
	v_mul_f32_e32 v109, s47, v109                              // 000000007200: 0ADADA2F
	v_mfma_f32_16x16x32_f16 v[112:115], a[36:39], v[40:43], v[112:115]// 000000007204: D3D40070 0DC25124
	ds_read_b128 a[16:19], v14 offset:16384                    // 00000000720C: DBFE4000 1000000E
	ds_read_b128 a[20:23], v14 offset:17408                    // 000000007214: DBFE4400 1400000E
	v_mfma_f32_16x16x32_f16 v[112:115], a[44:47], v[44:47], v[112:115]// 00000000721C: D3D40070 0DC2592C
	v_mul_f32_e32 v110, s47, v110                              // 000000007224: 0ADCDC2F
	s_cmp_ge_u32 s59, s73                                      // 000000007228: BF09493B
	s_cselect_b32 s66, s67, s66                                // 00000000722C: 85424243
	s_waitcnt lgkmcnt(10)                                      // 000000007230: BF8CCA7F
	v_mfma_f32_16x16x32_f16 v[112:115], v[60:63], v[48:51], v[112:115]// 000000007234: D3D40070 05C2613C
	ds_read_b128 a[24:27], v14 offset:18432                    // 00000000723C: DBFE4800 1800000E
	ds_read_b128 a[28:31], v14 offset:19456                    // 000000007244: DBFE4C00 1C00000E
	v_mfma_f32_16x16x32_f16 v[112:115], v[68:71], v[52:55], v[112:115]// 00000000724C: D3D40070 05C26944
	s_addk_i32 s59, 0x10                                       // 000000007254: B73B0010
	v_mul_f32_e32 v111, s47, v111                              // 000000007258: 0ADEDE2F
	s_cmp_lt_i32 s59, s58                                      // 00000000725C: BF043A3B
	s_cbranch_scc0 label_12E0                                  // 000000007260: BF840633
	s_waitcnt lgkmcnt(2)                                       // 000000007264: BF8CC27F
	v_mfma_f32_16x16x32_f16 v[24:27], a[112:115], a[0:3], 0    // 000000007268: D3D40018 1A020170
	ds_read_b128 a[32:35], v14 offset:32768                    // 000000007270: DBFE8000 2000000E
	ds_read_b128 a[36:39], v14 offset:33792                    // 000000007278: DBFE8400 2400000E
	v_mfma_f32_16x16x32_f16 v[24:27], a[116:119], a[4:7], v[24:27]// 000000007280: D3D40018 1C620974
	v_add_u32_e32 v4, s66, v4                                  // 000000007288: 68080842
	v_add_u32_e32 v5, s66, v5                                  // 00000000728C: 680A0A42
	v_add_u32_e32 v6, s66, v6                                  // 000000007290: 680C0C42
	v_add_u32_e32 v7, s66, v7                                  // 000000007294: 680E0E42
	v_mfma_f32_16x16x32_f16 v[24:27], a[120:123], a[8:11], v[24:27]// 000000007298: D3D40018 1C621178
	ds_read_b128 a[40:43], v14 offset:34816                    // 0000000072A0: DBFE8800 2800000E
	ds_read_b128 a[44:47], v14 offset:35840                    // 0000000072A8: DBFE8C00 2C00000E
	v_mfma_f32_16x16x32_f16 v[24:27], a[124:127], a[12:15], v[24:27]// 0000000072B0: D3D40018 1C62197C
	v_mul_f32_e32 v112, s47, v112                              // 0000000072B8: 0AE0E02F
	v_mul_f32_e32 v113, s47, v113                              // 0000000072BC: 0AE2E22F
	v_mfma_f32_16x16x32_f16 v[28:31], a[112:115], a[16:19], 0  // 0000000072C0: D3D4001C 1A022170
	ds_read_b128 v[56:59], v14 offset:49152                    // 0000000072C8: D9FEC000 3800000E
	ds_read_b128 v[60:63], v14 offset:50176                    // 0000000072D0: D9FEC400 3C00000E
	v_mfma_f32_16x16x32_f16 v[28:31], a[116:119], a[20:23], v[28:31]// 0000000072D8: D3D4001C 1C722974
	v_mul_f32_e32 v114, s47, v114                              // 0000000072E0: 0AE4E42F
	v_mul_f32_e32 v115, s47, v115                              // 0000000072E4: 0AE6E62F
	s_waitcnt lgkmcnt(6)                                       // 0000000072E8: BF8CC67F
	v_mfma_f32_16x16x32_f16 v[28:31], a[120:123], a[24:27], v[28:31]// 0000000072EC: D3D4001C 1C723178
	ds_read_b128 v[64:67], v14 offset:51200                    // 0000000072F4: D9FEC800 4000000E
	ds_read_b128 v[68:71], v14 offset:52224                    // 0000000072FC: D9FECC00 4400000E
	v_mfma_f32_16x16x32_f16 v[28:31], a[124:127], a[28:31], v[28:31]// 000000007304: D3D4001C 1C72397C
	v_fma_f32 v24, v24, s57, -v104                             // 00000000730C: D1CB0018 85A07318
	v_fma_f32 v25, v25, s57, -v105                             // 000000007314: D1CB0019 85A47319
	s_waitcnt lgkmcnt(6)                                       // 00000000731C: BF8CC67F
	v_mfma_f32_16x16x32_f16 v[32:35], a[112:115], a[32:35], 0  // 000000007320: D3D40020 1A024170
	ds_read_b128 v[72:75], v9 offset:24576                     // 000000007328: D9FE6000 48000009
	ds_read_b128 v[76:79], v9 offset:25600                     // 000000007330: D9FE6400 4C000009
	v_mfma_f32_16x16x32_f16 v[32:35], a[116:119], a[36:39], v[32:35]// 000000007338: D3D40020 1C824974
	v_fma_f32 v26, v26, s57, -v106                             // 000000007340: D1CB001A 85A8731A
	v_fma_f32 v27, v27, s57, -v107                             // 000000007348: D1CB001B 85AC731B
	v_cvt_pk_f16_f32 v108, v108, v109                          // 000000007350: D267006C 0002DB6C
	v_cvt_pk_f16_f32 v109, v110, v111                          // 000000007358: D267006D 0002DF6E
	s_waitcnt lgkmcnt(6)                                       // 000000007360: BF8CC67F
	v_mfma_f32_16x16x32_f16 v[32:35], a[120:123], a[40:43], v[32:35]// 000000007364: D3D40020 1C825178
	ds_read_b128 v[80:83], v9 offset:26624                     // 00000000736C: D9FE6800 50000009
	ds_read_b128 v[84:87], v9 offset:27648                     // 000000007374: D9FE6C00 54000009
	v_mfma_f32_16x16x32_f16 v[32:35], a[124:127], a[44:47], v[32:35]// 00000000737C: D3D40020 1C82597C
	v_fma_f32 v28, v28, s57, -v104                             // 000000007384: D1CB001C 85A0731C
	v_fma_f32 v29, v29, s57, -v105                             // 00000000738C: D1CB001D 85A4731D
	v_cvt_pk_f16_f32 v110, v112, v113                          // 000000007394: D267006E 0002E370
	v_cvt_pk_f16_f32 v111, v114, v115                          // 00000000739C: D267006F 0002E772
	s_waitcnt lgkmcnt(6)                                       // 0000000073A4: BF8CC67F
	v_mfma_f32_16x16x32_f16 v[36:39], a[112:115], v[56:59], 0  // 0000000073A8: D3D40024 0A027170
	ds_read_b64_tr_b16 v[88:89], v10 offset:24576              // 0000000073B0: D9C66000 5800000A
	ds_read_b64_tr_b16 v[90:91], v10 offset:24832              // 0000000073B8: D9C66100 5A00000A
	ds_read_b64_tr_b16 v[92:93], v10 offset:25600              // 0000000073C0: D9C66400 5C00000A
	ds_read_b64_tr_b16 v[94:95], v10 offset:25856              // 0000000073C8: D9C66500 5E00000A
	v_mfma_f32_16x16x32_f16 v[36:39], a[116:119], v[60:63], v[36:39]// 0000000073D0: D3D40024 0C927974
	v_fma_f32 v30, v30, s57, -v106                             // 0000000073D8: D1CB001E 85A8731E
	v_fma_f32 v31, v31, s57, -v107                             // 0000000073E0: D1CB001F 85AC731F
	s_waitcnt lgkmcnt(8)                                       // 0000000073E8: BF8CC87F
	v_mfma_f32_16x16x32_f16 v[36:39], a[120:123], v[64:67], v[36:39]// 0000000073EC: D3D40024 0C928178
	ds_read_b64_tr_b16 v[96:97], v10 offset:26624              // 0000000073F4: D9C66800 6000000A
	ds_read_b64_tr_b16 v[98:99], v10 offset:26880              // 0000000073FC: D9C66900 6200000A
	ds_read_b64_tr_b16 v[100:101], v10 offset:27648            // 000000007404: D9C66C00 6400000A
	ds_read_b64_tr_b16 v[102:103], v10 offset:27904            // 00000000740C: D9C66D00 6600000A
	v_mfma_f32_16x16x32_f16 v[36:39], a[124:127], v[68:71], v[36:39]// 000000007414: D3D40024 0C92897C
	v_fma_f32 v32, v32, s57, -v104                             // 00000000741C: D1CB0020 85A07320
	v_fma_f32 v33, v33, s57, -v105                             // 000000007424: D1CB0021 85A47321
	v_fma_f32 v34, v34, s57, -v106                             // 00000000742C: D1CB0022 85A87322
	v_fma_f32 v35, v35, s57, -v107                             // 000000007434: D1CB0023 85AC7323
	s_cmp_lt_i32 s74, 16                                       // 00000000743C: BF04904A
	s_cbranch_scc0 label_0DB5                                  // 000000007440: BF84009A
	s_mov_b32 s60, 0xffe0fffe                                  // 000000007444: BEBC00FF FFE0FFFE
	s_mov_b32 s61, 0xe000fe00                                  // 00000000744C: BEBD00FF E000FE00
	s_nop 0                                                    // 000000007454: BF800000
	s_add_u32 s62, 0, s46                                      // 000000007458: 803E2E80
	s_cmp_lt_i32 s74, s62                                      // 00000000745C: BF043E4A
	s_cbranch_scc1 label_0D50                                  // 000000007460: BF85002D
	s_cmp_eq_i32 s74, s62                                      // 000000007464: BF003E4A
	s_cbranch_scc1 label_0D35                                  // 000000007468: BF850010
	s_add_u32 s62, 4, s46                                      // 00000000746C: 803E2E84
	s_cmp_lt_i32 s74, s62                                      // 000000007470: BF043E4A
	s_cbranch_scc1 label_0D70                                  // 000000007474: BF850048
	s_cmp_eq_i32 s74, s62                                      // 000000007478: BF003E4A
	s_cbranch_scc1 label_0D55                                  // 00000000747C: BF85002B
	s_add_u32 s62, 8, s46                                      // 000000007480: 803E2E88
	s_cmp_lt_i32 s74, s62                                      // 000000007484: BF043E4A
	s_cbranch_scc1 label_0D90                                  // 000000007488: BF850063
	s_cmp_eq_i32 s74, s62                                      // 00000000748C: BF003E4A
	s_cbranch_scc1 label_0D75                                  // 000000007490: BF850046
	s_add_u32 s62, 12, s46                                     // 000000007494: 803E2E8C
	s_cmp_lt_i32 s74, s62                                      // 000000007498: BF043E4A
	s_cbranch_scc1 label_0DB0                                  // 00000000749C: BF85007E
	s_cmp_eq_i32 s74, s62                                      // 0000000074A0: BF003E4A
	s_cbranch_scc1 label_0D95                                  // 0000000074A4: BF850061
	s_branch label_0DB5                                        // 0000000074A8: BF820080

00000000000074ac <label_0D35>:
	v_cndmask_b32_e64 v24, v24, v125, s[60:61]                 // 0000000074AC: D1000018 00F2FB18
	s_lshl_b32 s60, s60, 1                                     // 0000000074B4: 8E3C813C
	s_lshl_b32 s61, s61, 1                                     // 0000000074B8: 8E3D813D
	s_and_b32 s60, 0xfffeffff, s60                             // 0000000074BC: 863C3CFF FFFEFFFF
	s_and_b32 s61, 0xfffeffff, s61                             // 0000000074C4: 863D3DFF FFFEFFFF
	v_cndmask_b32_e64 v25, v25, v125, s[60:61]                 // 0000000074CC: D1000019 00F2FB19
	s_lshl_b32 s60, s60, 1                                     // 0000000074D4: 8E3C813C
	s_lshl_b32 s61, s61, 1                                     // 0000000074D8: 8E3D813D
	s_and_b32 s60, 0xfffeffff, s60                             // 0000000074DC: 863C3CFF FFFEFFFF
	s_and_b32 s61, 0xfffeffff, s61                             // 0000000074E4: 863D3DFF FFFEFFFF
	v_cndmask_b32_e64 v26, v26, v125, s[60:61]                 // 0000000074EC: D100001A 00F2FB1A
	s_lshl_b32 s60, s60, 1                                     // 0000000074F4: 8E3C813C
	s_lshl_b32 s61, s61, 1                                     // 0000000074F8: 8E3D813D
	s_and_b32 s60, 0xfffeffff, s60                             // 0000000074FC: 863C3CFF FFFEFFFF
	s_and_b32 s61, 0xfffeffff, s61                             // 000000007504: 863D3DFF FFFEFFFF
	v_cndmask_b32_e64 v27, v27, v125, s[60:61]                 // 00000000750C: D100001B 00F2FB1B
	s_branch label_0D70                                        // 000000007514: BF820020

0000000000007518 <label_0D50>:
	v_mov_b32_e32 v24, v125                                    // 000000007518: 7E30037D
	v_mov_b32_e32 v25, v125                                    // 00000000751C: 7E32037D
	v_mov_b32_e32 v26, v125                                    // 000000007520: 7E34037D
	v_mov_b32_e32 v27, v125                                    // 000000007524: 7E36037D
	s_branch label_0D70                                        // 000000007528: BF82001B

000000000000752c <label_0D55>:
	v_cndmask_b32_e64 v28, v28, v125, s[60:61]                 // 00000000752C: D100001C 00F2FB1C
	s_lshl_b32 s60, s60, 1                                     // 000000007534: 8E3C813C
	s_lshl_b32 s61, s61, 1                                     // 000000007538: 8E3D813D
	s_and_b32 s60, 0xfffeffff, s60                             // 00000000753C: 863C3CFF FFFEFFFF
	s_and_b32 s61, 0xfffeffff, s61                             // 000000007544: 863D3DFF FFFEFFFF
	v_cndmask_b32_e64 v29, v29, v125, s[60:61]                 // 00000000754C: D100001D 00F2FB1D
	s_lshl_b32 s60, s60, 1                                     // 000000007554: 8E3C813C
	s_lshl_b32 s61, s61, 1                                     // 000000007558: 8E3D813D
	s_and_b32 s60, 0xfffeffff, s60                             // 00000000755C: 863C3CFF FFFEFFFF
	s_and_b32 s61, 0xfffeffff, s61                             // 000000007564: 863D3DFF FFFEFFFF
	v_cndmask_b32_e64 v30, v30, v125, s[60:61]                 // 00000000756C: D100001E 00F2FB1E
	s_lshl_b32 s60, s60, 1                                     // 000000007574: 8E3C813C
	s_lshl_b32 s61, s61, 1                                     // 000000007578: 8E3D813D
	s_and_b32 s60, 0xfffeffff, s60                             // 00000000757C: 863C3CFF FFFEFFFF
	s_and_b32 s61, 0xfffeffff, s61                             // 000000007584: 863D3DFF FFFEFFFF
	v_cndmask_b32_e64 v31, v31, v125, s[60:61]                 // 00000000758C: D100001F 00F2FB1F
	s_branch label_0D90                                        // 000000007594: BF820020

0000000000007598 <label_0D70>:
	v_mov_b32_e32 v28, v125                                    // 000000007598: 7E38037D
	v_mov_b32_e32 v29, v125                                    // 00000000759C: 7E3A037D
	v_mov_b32_e32 v30, v125                                    // 0000000075A0: 7E3C037D
	v_mov_b32_e32 v31, v125                                    // 0000000075A4: 7E3E037D
	s_branch label_0D90                                        // 0000000075A8: BF82001B

00000000000075ac <label_0D75>:
	v_cndmask_b32_e64 v32, v32, v125, s[60:61]                 // 0000000075AC: D1000020 00F2FB20
	s_lshl_b32 s60, s60, 1                                     // 0000000075B4: 8E3C813C
	s_lshl_b32 s61, s61, 1                                     // 0000000075B8: 8E3D813D
	s_and_b32 s60, 0xfffeffff, s60                             // 0000000075BC: 863C3CFF FFFEFFFF
	s_and_b32 s61, 0xfffeffff, s61                             // 0000000075C4: 863D3DFF FFFEFFFF
	v_cndmask_b32_e64 v33, v33, v125, s[60:61]                 // 0000000075CC: D1000021 00F2FB21
	s_lshl_b32 s60, s60, 1                                     // 0000000075D4: 8E3C813C
	s_lshl_b32 s61, s61, 1                                     // 0000000075D8: 8E3D813D
	s_and_b32 s60, 0xfffeffff, s60                             // 0000000075DC: 863C3CFF FFFEFFFF
	s_and_b32 s61, 0xfffeffff, s61                             // 0000000075E4: 863D3DFF FFFEFFFF
	v_cndmask_b32_e64 v34, v34, v125, s[60:61]                 // 0000000075EC: D1000022 00F2FB22
	s_lshl_b32 s60, s60, 1                                     // 0000000075F4: 8E3C813C
	s_lshl_b32 s61, s61, 1                                     // 0000000075F8: 8E3D813D
	s_and_b32 s60, 0xfffeffff, s60                             // 0000000075FC: 863C3CFF FFFEFFFF
	s_and_b32 s61, 0xfffeffff, s61                             // 000000007604: 863D3DFF FFFEFFFF
	v_cndmask_b32_e64 v35, v35, v125, s[60:61]                 // 00000000760C: D1000023 00F2FB23
	s_branch label_0DB0                                        // 000000007614: BF820020

0000000000007618 <label_0D90>:
	v_mov_b32_e32 v32, v125                                    // 000000007618: 7E40037D
	v_mov_b32_e32 v33, v125                                    // 00000000761C: 7E42037D
	v_mov_b32_e32 v34, v125                                    // 000000007620: 7E44037D
	v_mov_b32_e32 v35, v125                                    // 000000007624: 7E46037D
	s_branch label_0DB0                                        // 000000007628: BF82001B

000000000000762c <label_0D95>:
	v_cndmask_b32_e64 v36, v36, v125, s[60:61]                 // 00000000762C: D1000024 00F2FB24
	s_lshl_b32 s60, s60, 1                                     // 000000007634: 8E3C813C
	s_lshl_b32 s61, s61, 1                                     // 000000007638: 8E3D813D
	s_and_b32 s60, 0xfffeffff, s60                             // 00000000763C: 863C3CFF FFFEFFFF
	s_and_b32 s61, 0xfffeffff, s61                             // 000000007644: 863D3DFF FFFEFFFF
	v_cndmask_b32_e64 v37, v37, v125, s[60:61]                 // 00000000764C: D1000025 00F2FB25
	s_lshl_b32 s60, s60, 1                                     // 000000007654: 8E3C813C
	s_lshl_b32 s61, s61, 1                                     // 000000007658: 8E3D813D
	s_and_b32 s60, 0xfffeffff, s60                             // 00000000765C: 863C3CFF FFFEFFFF
	s_and_b32 s61, 0xfffeffff, s61                             // 000000007664: 863D3DFF FFFEFFFF
	v_cndmask_b32_e64 v38, v38, v125, s[60:61]                 // 00000000766C: D1000026 00F2FB26
	s_lshl_b32 s60, s60, 1                                     // 000000007674: 8E3C813C
	s_lshl_b32 s61, s61, 1                                     // 000000007678: 8E3D813D
	s_and_b32 s60, 0xfffeffff, s60                             // 00000000767C: 863C3CFF FFFEFFFF
	s_and_b32 s61, 0xfffeffff, s61                             // 000000007684: 863D3DFF FFFEFFFF
	v_cndmask_b32_e64 v39, v39, v125, s[60:61]                 // 00000000768C: D1000027 00F2FB27
	s_branch label_0DB5                                        // 000000007694: BF820005

0000000000007698 <label_0DB0>:
	v_mov_b32_e32 v36, v125                                    // 000000007698: 7E48037D
	v_mov_b32_e32 v37, v125                                    // 00000000769C: 7E4A037D
	v_mov_b32_e32 v38, v125                                    // 0000000076A0: 7E4C037D
	v_mov_b32_e32 v39, v125                                    // 0000000076A4: 7E4E037D
	s_branch label_0DB5                                        // 0000000076A8: BF820000

00000000000076ac <label_0DB5>:
	s_cmp_lt_i32 s99, 0x100                                    // 0000000076AC: BF04FF63 00000100
	s_cbranch_scc0 label_0E26                                  // 0000000076B4: BF840069
	s_cmp_le_i32 s99, 64                                       // 0000000076B8: BF05C063
	s_cbranch_scc1 label_0DC4                                  // 0000000076BC: BF85000A
	s_cmp_le_i32 s99, 0x80                                     // 0000000076C0: BF05FF63 00000080
	s_cbranch_scc1 label_0DDC                                  // 0000000076C8: BF85001A
	s_cmp_lt_i32 s99, 0xc0                                     // 0000000076CC: BF04FF63 000000C0
	s_cbranch_scc1 label_0DF4                                  // 0000000076D4: BF85002F
	s_cmp_lt_i32 s99, 0x100                                    // 0000000076D8: BF04FF63 00000100
	s_cbranch_scc1 label_0E0D                                  // 0000000076E0: BF850045
	s_branch label_0E26                                        // 0000000076E4: BF82005D

00000000000076e8 <label_0DC4>:
	s_mov_b32 s60, 0                                           // 0000000076E8: BEBC0080
	v_and_b32_e32 v20, 15, v0                                  // 0000000076EC: 2628008F
	v_add_u32_e64 v20, v20, s60                                // 0000000076F0: D1340014 00007914
	v_mul_i32_i24_e64 v21, s46, 16                             // 0000000076F8: D1060015 0001202E
	v_add_u32_e32 v20, v20, v21                                // 000000007700: 68282B14
	v_cmp_lt_u32_e64 s[60:61], v20, s99                        // 000000007704: D0C9003C 0000C714
	s_nop 1                                                    // 00000000770C: BF800001
	v_cndmask_b32_e64 v24, v125, v24, s[60:61]                 // 000000007710: D1000018 00F2317D
	v_cndmask_b32_e64 v25, v125, v25, s[60:61]                 // 000000007718: D1000019 00F2337D
	v_cndmask_b32_e64 v26, v125, v26, s[60:61]                 // 000000007720: D100001A 00F2357D
	v_cndmask_b32_e64 v27, v125, v27, s[60:61]                 // 000000007728: D100001B 00F2377D
	s_branch label_0DEF                                        // 000000007730: BF820013

0000000000007734 <label_0DDC>:
	s_mov_b32 s60, 64                                          // 000000007734: BEBC00C0
	v_and_b32_e32 v20, 15, v0                                  // 000000007738: 2628008F
	v_add_u32_e64 v20, v20, s60                                // 00000000773C: D1340014 00007914
	v_mul_i32_i24_e64 v21, s46, 16                             // 000000007744: D1060015 0001202E
	v_add_u32_e32 v20, v20, v21                                // 00000000774C: 68282B14
	v_cmp_lt_u32_e64 s[60:61], v20, s99                        // 000000007750: D0C9003C 0000C714
	s_nop 1                                                    // 000000007758: BF800001
	v_cndmask_b32_e64 v28, v125, v28, s[60:61]                 // 00000000775C: D100001C 00F2397D
	v_cndmask_b32_e64 v29, v125, v29, s[60:61]                 // 000000007764: D100001D 00F23B7D
	v_cndmask_b32_e64 v30, v125, v30, s[60:61]                 // 00000000776C: D100001E 00F23D7D
	v_cndmask_b32_e64 v31, v125, v31, s[60:61]                 // 000000007774: D100001F 00F23F7D
	s_branch label_0E08                                        // 00000000777C: BF820019

0000000000007780 <label_0DEF>:
	v_mov_b32_e32 v28, v125                                    // 000000007780: 7E38037D
	v_mov_b32_e32 v29, v125                                    // 000000007784: 7E3A037D
	v_mov_b32_e32 v30, v125                                    // 000000007788: 7E3C037D
	v_mov_b32_e32 v31, v125                                    // 00000000778C: 7E3E037D
	s_branch label_0E08                                        // 000000007790: BF820014

0000000000007794 <label_0DF4>:
	s_mov_b32 s60, 0x80                                        // 000000007794: BEBC00FF 00000080
	v_and_b32_e32 v20, 15, v0                                  // 00000000779C: 2628008F
	v_add_u32_e64 v20, v20, s60                                // 0000000077A0: D1340014 00007914
	v_mul_i32_i24_e64 v21, s46, 16                             // 0000000077A8: D1060015 0001202E
	v_add_u32_e32 v20, v20, v21                                // 0000000077B0: 68282B14
	v_cmp_lt_u32_e64 s[60:61], v20, s99                        // 0000000077B4: D0C9003C 0000C714
	s_nop 1                                                    // 0000000077BC: BF800001
	v_cndmask_b32_e64 v32, v125, v32, s[60:61]                 // 0000000077C0: D1000020 00F2417D
	v_cndmask_b32_e64 v33, v125, v33, s[60:61]                 // 0000000077C8: D1000021 00F2437D
	v_cndmask_b32_e64 v34, v125, v34, s[60:61]                 // 0000000077D0: D1000022 00F2457D
	v_cndmask_b32_e64 v35, v125, v35, s[60:61]                 // 0000000077D8: D1000023 00F2477D
	s_branch label_0E21                                        // 0000000077E0: BF820019

00000000000077e4 <label_0E08>:
	v_mov_b32_e32 v32, v125                                    // 0000000077E4: 7E40037D
	v_mov_b32_e32 v33, v125                                    // 0000000077E8: 7E42037D
	v_mov_b32_e32 v34, v125                                    // 0000000077EC: 7E44037D
	v_mov_b32_e32 v35, v125                                    // 0000000077F0: 7E46037D
	s_branch label_0E21                                        // 0000000077F4: BF820014

00000000000077f8 <label_0E0D>:
	s_mov_b32 s60, 0xc0                                        // 0000000077F8: BEBC00FF 000000C0
	v_and_b32_e32 v20, 15, v0                                  // 000000007800: 2628008F
	v_add_u32_e64 v20, v20, s60                                // 000000007804: D1340014 00007914
	v_mul_i32_i24_e64 v21, s46, 16                             // 00000000780C: D1060015 0001202E
	v_add_u32_e32 v20, v20, v21                                // 000000007814: 68282B14
	v_cmp_lt_u32_e64 s[60:61], v20, s99                        // 000000007818: D0C9003C 0000C714
	s_nop 1                                                    // 000000007820: BF800001
	v_cndmask_b32_e64 v36, v125, v36, s[60:61]                 // 000000007824: D1000024 00F2497D
	v_cndmask_b32_e64 v37, v125, v37, s[60:61]                 // 00000000782C: D1000025 00F24B7D
	v_cndmask_b32_e64 v38, v125, v38, s[60:61]                 // 000000007834: D1000026 00F24D7D
	v_cndmask_b32_e64 v39, v125, v39, s[60:61]                 // 00000000783C: D1000027 00F24F7D
	s_branch label_0E26                                        // 000000007844: BF820005

0000000000007848 <label_0E21>:
	v_mov_b32_e32 v36, v125                                    // 000000007848: 7E48037D
	v_mov_b32_e32 v37, v125                                    // 00000000784C: 7E4A037D
	v_mov_b32_e32 v38, v125                                    // 000000007850: 7E4C037D
	v_mov_b32_e32 v39, v125                                    // 000000007854: 7E4E037D
	s_branch label_0E26                                        // 000000007858: BF820000

000000000000785c <label_0E26>:
	s_addk_i32 s74, 0x1                                        // 00000000785C: B74A0001
	s_waitcnt lgkmcnt(8)                                       // 000000007860: BF8CC87F
	v_mfma_f32_16x16x32_f16 v[56:59], v[72:75], a[48:51], 0    // 000000007864: D3D40038 12026148
	v_exp_f32_e32 v24, v24                                     // 00000000786C: 7E304118
	v_exp_f32_e32 v25, v25                                     // 000000007870: 7E324119
	v_mfma_f32_16x16x32_f16 v[56:59], v[76:79], a[52:55], v[56:59]// 000000007874: D3D40038 14E2694C
	v_exp_f32_e32 v26, v26                                     // 00000000787C: 7E34411A
	v_exp_f32_e32 v27, v27                                     // 000000007880: 7E36411B
	v_mfma_f32_16x16x32_f16 v[56:59], v[80:83], a[56:59], v[56:59]// 000000007884: D3D40038 14E27150
	ds_read_b64_tr_b16 a[112:113], v10 offset:8192             // 00000000788C: DBC62000 7000000A
	ds_read_b64_tr_b16 a[114:115], v10 offset:8448             // 000000007894: DBC62100 7200000A
	v_mfma_f32_16x16x32_f16 v[56:59], v[84:87], a[60:63], v[56:59]// 00000000789C: D3D40038 14E27954
	v_fma_f32 v36, v36, s57, -v104                             // 0000000078A4: D1CB0024 85A07324
	v_fma_f32 v37, v37, s57, -v105                             // 0000000078AC: D1CB0025 85A47325
	v_exp_f32_e32 v28, v28                                     // 0000000078B4: 7E38411C
	v_exp_f32_e32 v29, v29                                     // 0000000078B8: 7E3A411D
	v_mfma_f32_16x16x32_f16 v[60:63], v[72:75], a[64:67], 0    // 0000000078BC: D3D4003C 12028148
	ds_read_b64_tr_b16 a[116:117], v10 offset:9216             // 0000000078C4: DBC62400 7400000A
	ds_read_b64_tr_b16 a[118:119], v10 offset:9472             // 0000000078CC: DBC62500 7600000A
	v_mfma_f32_16x16x32_f16 v[60:63], v[76:79], a[68:71], v[60:63]// 0000000078D4: D3D4003C 14F2894C
	v_fma_f32 v38, v38, s57, -v106                             // 0000000078DC: D1CB0026 85A87326
	v_fma_f32 v39, v39, s57, -v107                             // 0000000078E4: D1CB0027 85AC7327
	v_exp_f32_e32 v30, v30                                     // 0000000078EC: 7E3C411E
	v_exp_f32_e32 v31, v31                                     // 0000000078F0: 7E3E411F
	v_mfma_f32_16x16x32_f16 v[60:63], v[80:83], a[72:75], v[60:63]// 0000000078F4: D3D4003C 14F29150
	v_exp_f32_e32 v32, v32                                     // 0000000078FC: 7E404120
	v_exp_f32_e32 v33, v33                                     // 000000007900: 7E424121
	v_mfma_f32_16x16x32_f16 v[60:63], v[84:87], a[76:79], v[60:63]// 000000007904: D3D4003C 14F29954
	v_cvt_pk_f16_f32 v116, v24, v25                            // 00000000790C: D2670074 00023318
	v_cvt_pk_f16_f32 v117, v26, v27                            // 000000007914: D2670075 0002371A
	v_exp_f32_e32 v34, v34                                     // 00000000791C: 7E444122
	v_mfma_f32_16x16x32_f16 v[64:67], v[72:75], a[80:83], 0    // 000000007920: D3D40040 1202A148
	v_exp_f32_e32 v35, v35                                     // 000000007928: 7E464123
	v_exp_f32_e32 v36, v36                                     // 00000000792C: 7E484124
	v_mfma_f32_16x16x32_f16 v[64:67], v[76:79], a[84:87], v[64:67]// 000000007930: D3D40040 1502A94C
	v_cvt_pk_f16_f32 v118, v28, v29                            // 000000007938: D2670076 00023B1C
	v_cvt_pk_f16_f32 v119, v30, v31                            // 000000007940: D2670077 00023F1E
	v_exp_f32_e32 v37, v37                                     // 000000007948: 7E4A4125
	v_mfma_f32_16x16x32_f16 v[64:67], v[80:83], a[88:91], v[64:67]// 00000000794C: D3D40040 1502B150
	ds_read_b64_tr_b16 a[120:121], v10 offset:10240            // 000000007954: DBC62800 7800000A
	ds_read_b64_tr_b16 a[122:123], v10 offset:10496            // 00000000795C: DBC62900 7A00000A
	v_mfma_f32_16x16x32_f16 v[64:67], v[84:87], a[92:95], v[64:67]// 000000007964: D3D40040 1502B954
	v_exp_f32_e32 v38, v38                                     // 00000000796C: 7E4C4126
	v_exp_f32_e32 v39, v39                                     // 000000007970: 7E4E4127
	v_permlane16_swap_b32_e32 v116, v118                       // 000000007974: 7EE8B376
	v_mfma_f32_16x16x32_f16 v[68:71], v[72:75], a[96:99], 0    // 000000007978: D3D40044 1202C148
	ds_read_b64_tr_b16 a[124:125], v10 offset:11264            // 000000007980: DBC62C00 7C00000A
	ds_read_b64_tr_b16 a[126:127], v10 offset:11520            // 000000007988: DBC62D00 7E00000A
	v_mfma_f32_16x16x32_f16 v[68:71], v[76:79], a[100:103], v[68:71]// 000000007990: D3D40044 1512C94C
	v_cvt_pk_f16_f32 v120, v32, v33                            // 000000007998: D2670078 00024320
	v_cvt_pk_f16_f32 v121, v34, v35                            // 0000000079A0: D2670079 00024722
	v_cvt_pk_f16_f32 v122, v36, v37                            // 0000000079A8: D267007A 00024B24
	v_cvt_pk_f16_f32 v123, v38, v39                            // 0000000079B0: D267007B 00024F26
	v_permlane16_swap_b32_e32 v117, v119                       // 0000000079B8: 7EEAB377
	v_mfma_f32_16x16x32_f16 v[68:71], v[80:83], a[104:107], v[68:71]// 0000000079BC: D3D40044 1512D150
	v_permlane16_swap_b32_e32 v120, v122                       // 0000000079C4: 7EF0B37A
	v_mfma_f32_16x16x32_f16 v[68:71], v[84:87], a[108:111], v[68:71]// 0000000079C8: D3D40044 1512D954
	v_permlane16_swap_b32_e32 v121, v123                       // 0000000079D0: 7EF2B37B
	s_waitcnt lgkmcnt(8)                                       // 0000000079D4: BF8CC87F
	v_mfma_f32_32x32x16_f16 v[126:141], v[88:91], v[116:119], v[126:141]// 0000000079D8: D3D5007E 05FAE958
	ds_read_b64_tr_b16 a[0:1], v15                             // 0000000079E0: DBC60000 0000000F
	ds_read_b64_tr_b16 a[2:3], v15 offset:256                  // 0000000079E8: DBC60100 0200000F
	ds_read_b64_tr_b16 a[4:5], v16                             // 0000000079F0: DBC60000 04000010
	ds_read_b64_tr_b16 a[6:7], v16 offset:256                  // 0000000079F8: DBC60100 06000010
	buffer_atomic_pk_add_f16 v108, v4, s[32:35], 0 offen       // 000000007A00: E1381000 80086C04
	v_mfma_f32_32x32x16_f16 v[142:157], v[92:95], v[116:119], v[142:157]// 000000007A08: D3D5008E 063AE95C
	v_subrev_f32_dpp v56, v124, v56 quad_perm:[0,0,0,0] row_mask:0xf bank_mask:0xf// 000000007A10: 067070FA FF00007C
	v_subrev_f32_dpp v57, v124, v57 quad_perm:[1,1,1,1] row_mask:0xf bank_mask:0xf// 000000007A18: 067272FA FF00557C
	v_subrev_f32_dpp v58, v124, v58 quad_perm:[2,2,2,2] row_mask:0xf bank_mask:0xf// 000000007A20: 067474FA FF00AA7C
	v_subrev_f32_dpp v59, v124, v59 quad_perm:[3,3,3,3] row_mask:0xf bank_mask:0xf// 000000007A28: 067676FA FF00FF7C
	v_subrev_f32_dpp v60, v124, v60 quad_perm:[0,0,0,0] row_mask:0xf bank_mask:0xf// 000000007A30: 067878FA FF00007C
	v_subrev_f32_dpp v61, v124, v61 quad_perm:[1,1,1,1] row_mask:0xf bank_mask:0xf// 000000007A38: 067A7AFA FF00557C
	v_subrev_f32_dpp v62, v124, v62 quad_perm:[2,2,2,2] row_mask:0xf bank_mask:0xf// 000000007A40: 067C7CFA FF00AA7C
	v_subrev_f32_dpp v63, v124, v63 quad_perm:[3,3,3,3] row_mask:0xf bank_mask:0xf// 000000007A48: 067E7EFA FF00FF7C
	v_mul_f32_e32 v56, v24, v56                                // 000000007A50: 0A707118
	v_mul_f32_e32 v57, v25, v57                                // 000000007A54: 0A727319
	v_mfma_f32_32x32x16_f16 v[158:173], v[96:99], v[116:119], v[158:173]// 000000007A58: D3D5009E 067AE960
	ds_read_b64_tr_b16 a[8:9], v15 offset:8192                 // 000000007A60: DBC62000 0800000F
	ds_read_b64_tr_b16 a[10:11], v15 offset:8448               // 000000007A68: DBC62100 0A00000F
	ds_read_b64_tr_b16 a[12:13], v16 offset:8192               // 000000007A70: DBC62000 0C000010
	ds_read_b64_tr_b16 a[14:15], v16 offset:8448               // 000000007A78: DBC62100 0E000010
	v_mfma_f32_32x32x16_f16 v[174:189], v[100:103], v[116:119], v[174:189]// 000000007A80: D3D500AE 06BAE964
	v_mul_f32_e32 v58, v26, v58                                // 000000007A88: 0A74751A
	v_mul_f32_e32 v59, v27, v59                                // 000000007A8C: 0A76771B
	v_mul_f32_e32 v60, v28, v60                                // 000000007A90: 0A78791C
	v_mul_f32_e32 v61, v29, v61                                // 000000007A94: 0A7A7B1D
	v_mul_f32_e32 v62, v30, v62                                // 000000007A98: 0A7C7D1E
	v_mul_f32_e32 v63, v31, v63                                // 000000007A9C: 0A7E7F1F
	v_cvt_pk_f16_f32 v56, v56, v57                             // 000000007AA0: D2670038 00027338
	v_cvt_pk_f16_f32 v57, v58, v59                             // 000000007AA8: D2670039 0002773A
	v_cvt_pk_f16_f32 v58, v60, v61                             // 000000007AB0: D267003A 00027B3C
	v_cvt_pk_f16_f32 v59, v62, v63                             // 000000007AB8: D267003B 00027F3E
	v_subrev_f32_dpp v64, v124, v64 quad_perm:[0,0,0,0] row_mask:0xf bank_mask:0xf// 000000007AC0: 068080FA FF00007C
	v_subrev_f32_dpp v65, v124, v65 quad_perm:[1,1,1,1] row_mask:0xf bank_mask:0xf// 000000007AC8: 068282FA FF00557C
	v_subrev_f32_dpp v66, v124, v66 quad_perm:[2,2,2,2] row_mask:0xf bank_mask:0xf// 000000007AD0: 068484FA FF00AA7C
	v_subrev_f32_dpp v67, v124, v67 quad_perm:[3,3,3,3] row_mask:0xf bank_mask:0xf// 000000007AD8: 068686FA FF00FF7C
	v_mfma_f32_32x32x16_f16 v[190:205], v[88:91], v[120:123], v[190:205]// 000000007AE0: D3D500BE 06FAF158
	ds_read_b64_tr_b16 a[16:17], v15 offset:16384              // 000000007AE8: DBC64000 1000000F
	ds_read_b64_tr_b16 a[18:19], v15 offset:16640              // 000000007AF0: DBC64100 1200000F
	ds_write_b64 v12, v[56:57] offset:32768                    // 000000007AF8: D89A8000 0000380C
	ds_write_b64 v12, v[58:59] offset:35072                    // 000000007B00: D89A8900 00003A0C
	buffer_atomic_pk_add_f16 v109, v5, s[32:35], 0 offen       // 000000007B08: E1381000 80086D05
	v_mfma_f32_32x32x16_f16 v[206:221], v[92:95], v[120:123], v[206:221]// 000000007B10: D3D500CE 073AF15C
	v_subrev_f32_dpp v68, v124, v68 quad_perm:[0,0,0,0] row_mask:0xf bank_mask:0xf// 000000007B18: 068888FA FF00007C
	v_subrev_f32_dpp v69, v124, v69 quad_perm:[1,1,1,1] row_mask:0xf bank_mask:0xf// 000000007B20: 068A8AFA FF00557C
	v_subrev_f32_dpp v70, v124, v70 quad_perm:[2,2,2,2] row_mask:0xf bank_mask:0xf// 000000007B28: 068C8CFA FF00AA7C
	v_subrev_f32_dpp v71, v124, v71 quad_perm:[3,3,3,3] row_mask:0xf bank_mask:0xf// 000000007B30: 068E8EFA FF00FF7C
	v_mul_f32_e32 v64, v32, v64                                // 000000007B38: 0A808120
	v_mul_f32_e32 v65, v33, v65                                // 000000007B3C: 0A828321
	v_mul_f32_e32 v66, v34, v66                                // 000000007B40: 0A848522
	v_mul_f32_e32 v67, v35, v67                                // 000000007B44: 0A868723
	v_mul_f32_e32 v68, v36, v68                                // 000000007B48: 0A888924
	v_mul_f32_e32 v69, v37, v69                                // 000000007B4C: 0A8A8B25
	v_mul_f32_e32 v70, v38, v70                                // 000000007B50: 0A8C8D26
	v_mul_f32_e32 v71, v39, v71                                // 000000007B54: 0A8E8F27
	v_cvt_pk_f16_f32 v60, v64, v65                             // 000000007B58: D267003C 00028340
	v_cvt_pk_f16_f32 v61, v66, v67                             // 000000007B60: D267003D 00028742
	v_cvt_pk_f16_f32 v62, v68, v69                             // 000000007B68: D267003E 00028B44
	v_cvt_pk_f16_f32 v63, v70, v71                             // 000000007B70: D267003F 00028F46
	v_mfma_f32_32x32x16_f16 v[222:237], v[96:99], v[120:123], v[222:237]// 000000007B78: D3D500DE 077AF160
	ds_read_b32 v104, v13 offset:43520                         // 000000007B80: D86CAA00 6800000D
	ds_read_b32 v124, v13 offset:43776                         // 000000007B88: D86CAB00 7C00000D
	ds_write_b64 v12, v[60:61] offset:37376                    // 000000007B90: D89A9200 00003C0C
	ds_write_b64 v12, v[62:63] offset:39680                    // 000000007B98: D89A9B00 00003E0C
	v_mfma_f32_32x32x16_f16 v[238:253], v[100:103], v[120:123], v[238:253]// 000000007BA0: D3D500EE 07BAF164
	v_permlane16_swap_b32_e32 v56, v58                         // 000000007BA8: 7E70B33A
	v_permlane16_swap_b32_e32 v57, v59                         // 000000007BAC: 7E72B33B
	s_nop 1                                                    // 000000007BB0: BF800001
	s_waitcnt lgkmcnt(12)                                      // 000000007BB4: BF8CCC7F
	v_mfma_f32_32x32x16_f16 a[128:143], a[112:115], v[56:59], a[128:143]// 000000007BB8: D3D58080 0E027170
	ds_read_b64_tr_b16 a[20:21], v16 offset:16384              // 000000007BC0: DBC64000 14000010
	ds_read_b64_tr_b16 a[22:23], v16 offset:16640              // 000000007BC8: DBC64100 16000010
	ds_read_b64_tr_b16 a[24:25], v15 offset:24576              // 000000007BD0: DBC66000 1800000F
	ds_read_b64_tr_b16 a[26:27], v15 offset:24832              // 000000007BD8: DBC66100 1A00000F
	ds_read_b64_tr_b16 a[28:29], v16 offset:24576              // 000000007BE0: DBC66000 1C000010
	ds_read_b64_tr_b16 a[30:31], v16 offset:24832              // 000000007BE8: DBC66100 1E000010
	ds_read_b64_tr_b16 a[32:33], v15 offset:32768              // 000000007BF0: DBC68000 2000000F
	ds_read_b64_tr_b16 a[34:35], v15 offset:33024              // 000000007BF8: DBC68100 2200000F
	v_mfma_f32_32x32x16_f16 a[144:159], a[116:119], v[56:59], a[144:159]// 000000007C00: D3D58090 0E427174
	v_permlane16_swap_b32_e32 v60, v62                         // 000000007C08: 7E78B33E
	buffer_atomic_pk_add_f16 v110, v6, s[32:35], 0 offen       // 000000007C0C: E1381000 80086E06
	s_waitcnt lgkmcnt(8)                                       // 000000007C14: BF8CC87F
	s_barrier                                                  // 000000007C18: BF8A0000
	v_mfma_f32_32x32x16_f16 a[160:175], a[120:123], v[56:59], a[160:175]// 000000007C1C: D3D580A0 0E827178
	ds_read_b64_tr_b16 v[24:25], v11 offset:32768              // 000000007C24: D9C68000 1800000B
	ds_read_b64_tr_b16 v[26:27], v11 offset:32800              // 000000007C2C: D9C68020 1A00000B
	ds_read_b64_tr_b16 v[28:29], v11 offset:33920              // 000000007C34: D9C68480 1C00000B
	ds_read_b64_tr_b16 v[30:31], v11 offset:33952              // 000000007C3C: D9C684A0 1E00000B
	ds_read_b64_tr_b16 v[32:33], v11 offset:35072              // 000000007C44: D9C68900 2000000B
	ds_read_b64_tr_b16 v[34:35], v11 offset:35104              // 000000007C4C: D9C68920 2200000B
	ds_read_b64_tr_b16 v[36:37], v11 offset:36224              // 000000007C54: D9C68D80 2400000B
	ds_read_b64_tr_b16 v[38:39], v11 offset:36256              // 000000007C5C: D9C68DA0 2600000B
	v_mfma_f32_32x32x16_f16 a[176:191], a[124:127], v[56:59], a[176:191]// 000000007C64: D3D580B0 0EC2717C
	v_permlane16_swap_b32_e32 v61, v63                         // 000000007C6C: 7E7AB33F
	v_mul_f32_e32 v104, s48, v104                              // 000000007C70: 0AD0D030
	v_mfma_f32_32x32x16_f16 a[192:207], a[112:115], v[60:63], a[192:207]// 000000007C74: D3D580C0 0F027970
	ds_read_b64_tr_b16 v[40:41], v11 offset:37376              // 000000007C7C: D9C69200 2800000B
	ds_read_b64_tr_b16 v[42:43], v11 offset:37408              // 000000007C84: D9C69220 2A00000B
	ds_read_b64_tr_b16 v[44:45], v11 offset:38528              // 000000007C8C: D9C69680 2C00000B
	ds_read_b64_tr_b16 v[46:47], v11 offset:38560              // 000000007C94: D9C696A0 2E00000B
	ds_read_b64_tr_b16 a[36:37], v16 offset:32768              // 000000007C9C: DBC68000 24000010
	ds_read_b64_tr_b16 a[38:39], v16 offset:33024              // 000000007CA4: DBC68100 26000010
	ds_read_b64_tr_b16 a[40:41], v15 offset:40960              // 000000007CAC: DBC6A000 2800000F
	ds_read_b64_tr_b16 a[42:43], v15 offset:41216              // 000000007CB4: DBC6A100 2A00000F
	v_mfma_f32_32x32x16_f16 a[208:223], a[116:119], v[60:63], a[208:223]// 000000007CBC: D3D580D0 0F427974
	v_mov_b32_dpp v107, v104 quad_perm:[3,3,3,3] row_mask:0xf bank_mask:0xf// 000000007CC4: 7ED602FA FF00FF68
	v_mov_b32_dpp v106, v104 quad_perm:[2,2,2,2] row_mask:0xf bank_mask:0xf// 000000007CCC: 7ED402FA FF00AA68
	buffer_atomic_pk_add_f16 v111, v7, s[32:35], 0 offen       // 000000007CD4: E1381000 80086F07
	v_mfma_f32_32x32x16_f16 a[224:239], a[120:123], v[60:63], a[224:239]// 000000007CDC: D3D580E0 0F827978
	ds_read_b64_tr_b16 v[48:49], v11 offset:39680              // 000000007CE4: D9C69B00 3000000B
	ds_read_b64_tr_b16 v[50:51], v11 offset:39712              // 000000007CEC: D9C69B20 3200000B
	ds_read_b64_tr_b16 v[52:53], v11 offset:40832              // 000000007CF4: D9C69F80 3400000B
	ds_read_b64_tr_b16 v[54:55], v11 offset:40864              // 000000007CFC: D9C69FA0 3600000B
	ds_read_b64_tr_b16 a[44:45], v16 offset:40960              // 000000007D04: DBC6A000 2C000010
	ds_read_b64_tr_b16 a[46:47], v16 offset:41216              // 000000007D0C: DBC6A100 2E000010
	v_mfma_f32_32x32x16_f16 a[240:255], a[124:127], v[60:63], a[240:255]// 000000007D14: D3D580F0 0FC2797C
	v_mov_b32_dpp v105, v104 quad_perm:[1,1,1,1] row_mask:0xf bank_mask:0xf// 000000007D1C: 7ED202FA FF005568
	v_mov_b32_dpp v104, v104 quad_perm:[0,0,0,0] row_mask:0xf bank_mask:0xf// 000000007D24: 7ED002FA FF000068
	s_waitcnt vmcnt(4) lgkmcnt(6)                              // 000000007D2C: BF8C0674
	s_barrier                                                  // 000000007D30: BF8A0000
	v_mfma_f32_16x16x32_f16 v[108:111], a[0:3], v[24:27], 0    // 000000007D34: D3D4006C 0A023100
	ds_read_b64_tr_b16 v[56:57], v15 offset:49152              // 000000007D3C: D9C6C000 3800000F
	ds_read_b64_tr_b16 v[58:59], v15 offset:49408              // 000000007D44: D9C6C100 3A00000F
	ds_read_b64_tr_b16 v[60:61], v16 offset:49152              // 000000007D4C: D9C6C000 3C000010
	ds_read_b64_tr_b16 v[62:63], v16 offset:49408              // 000000007D54: D9C6C100 3E000010
	v_mfma_f32_16x16x32_f16 v[108:111], a[8:11], v[28:31], v[108:111]// 000000007D5C: D3D4006C 0DB23908
	s_mov_b32 m0, s83                                          // 000000007D64: BEFC0053
	buffer_load_dwordx4 v1, s[8:11], 0 idxen lds               // 000000007D68: E05D2000 80020001
	v_mfma_f32_16x16x32_f16 v[108:111], a[16:19], v[32:35], v[108:111]// 000000007D70: D3D4006C 0DB24110
	ds_read_b64_tr_b16 v[64:65], v15 offset:57344              // 000000007D78: D9C6E000 4000000F
	ds_read_b64_tr_b16 v[66:67], v15 offset:57600              // 000000007D80: D9C6E100 4200000F
	ds_read_b64_tr_b16 v[68:69], v16 offset:57344              // 000000007D88: D9C6E000 44000010
	ds_read_b64_tr_b16 v[70:71], v16 offset:57600              // 000000007D90: D9C6E100 46000010
	v_mfma_f32_16x16x32_f16 v[108:111], a[24:27], v[36:39], v[108:111]// 000000007D98: D3D4006C 0DB24918
	s_mov_b32 m0, s87                                          // 000000007DA0: BEFC0057
	buffer_load_dwordx4 v254, s[20:23], 0 idxen lds            // 000000007DA4: E05D2000 800500FE
	v_mfma_f32_16x16x32_f16 v[108:111], a[32:35], v[40:43], v[108:111]// 000000007DAC: D3D4006C 0DB25120
	ds_read_b128 a[112:115], v9 offset:12288                   // 000000007DB4: DBFE3000 70000009
	ds_read_b128 a[116:119], v9 offset:13312                   // 000000007DBC: DBFE3400 74000009
	v_mfma_f32_16x16x32_f16 v[108:111], a[40:43], v[44:47], v[108:111]// 000000007DC4: D3D4006C 0DB25928
	s_mov_b32 m0, s79                                          // 000000007DCC: BEFC004F
	buffer_load_dword v8, s[24:27], 0 idxen lds                // 000000007DD0: E0512000 80060008
	s_waitcnt lgkmcnt(4)                                       // 000000007DD8: BF8CC47F
	s_barrier                                                  // 000000007DDC: BF8A0000
	v_mfma_f32_16x16x32_f16 v[108:111], v[56:59], v[48:51], v[108:111]// 000000007DE0: D3D4006C 05B26138
	ds_read_b128 a[120:123], v9 offset:14336                   // 000000007DE8: DBFE3800 78000009
	ds_read_b128 a[124:127], v9 offset:15360                   // 000000007DF0: DBFE3C00 7C000009
	v_mfma_f32_16x16x32_f16 v[108:111], v[64:67], v[52:55], v[108:111]// 000000007DF8: D3D4006C 05B26940
	s_add_u32 s60, 64, s59                                     // 000000007E00: 803C3BC0
	s_cmp_lt_u32 s60, s58                                      // 000000007E04: BF0A3A3C
	s_cselect_b32 s68, s68, 0                                  // 000000007E08: 85448044
	s_cselect_b32 s98, s98, 0                                  // 000000007E0C: 85628062
	s_cselect_b32 s69, s69, 0                                  // 000000007E10: 85458045
	v_mfma_f32_16x16x32_f16 v[112:115], a[4:7], v[24:27], 0    // 000000007E14: D3D40070 0A023104
	ds_read_b128 a[0:3], v14                                   // 000000007E1C: DBFE0000 0000000E
	ds_read_b128 a[4:7], v14 offset:1024                       // 000000007E24: DBFE0400 0400000E
	v_mfma_f32_16x16x32_f16 v[112:115], a[12:15], v[28:31], v[112:115]// 000000007E2C: D3D40070 0DC2390C
	v_add_u32_e32 v1, s68, v1                                  // 000000007E34: 68020244
	v_add_u32_e32 v254, s98, v254                              // 000000007E38: 69FDFC62
	v_add_u32_e32 v8, s69, v8                                  // 000000007E3C: 68101045
	v_mfma_f32_16x16x32_f16 v[112:115], a[20:23], v[32:35], v[112:115]// 000000007E40: D3D40070 0DC24114
	ds_read_b128 a[8:11], v14 offset:2048                      // 000000007E48: DBFE0800 0800000E
	ds_read_b128 a[12:15], v14 offset:3072                     // 000000007E50: DBFE0C00 0C00000E
	v_mfma_f32_16x16x32_f16 v[112:115], a[28:31], v[36:39], v[112:115]// 000000007E58: D3D40070 0DC2491C
	v_mul_f32_e32 v108, s47, v108                              // 000000007E60: 0AD8D82F
	v_mul_f32_e32 v109, s47, v109                              // 000000007E64: 0ADADA2F
	v_mfma_f32_16x16x32_f16 v[112:115], a[36:39], v[40:43], v[112:115]// 000000007E68: D3D40070 0DC25124
	ds_read_b128 a[16:19], v14 offset:16384                    // 000000007E70: DBFE4000 1000000E
	ds_read_b128 a[20:23], v14 offset:17408                    // 000000007E78: DBFE4400 1400000E
	v_mfma_f32_16x16x32_f16 v[112:115], a[44:47], v[44:47], v[112:115]// 000000007E80: D3D40070 0DC2592C
	v_mul_f32_e32 v110, s47, v110                              // 000000007E88: 0ADCDC2F
	s_cmp_ge_u32 s59, s73                                      // 000000007E8C: BF09493B
	s_cselect_b32 s66, s67, s66                                // 000000007E90: 85424243
	s_waitcnt lgkmcnt(10)                                      // 000000007E94: BF8CCA7F
	v_mfma_f32_16x16x32_f16 v[112:115], v[60:63], v[48:51], v[112:115]// 000000007E98: D3D40070 05C2613C
	ds_read_b128 a[24:27], v14 offset:18432                    // 000000007EA0: DBFE4800 1800000E
	ds_read_b128 a[28:31], v14 offset:19456                    // 000000007EA8: DBFE4C00 1C00000E
	v_mfma_f32_16x16x32_f16 v[112:115], v[68:71], v[52:55], v[112:115]// 000000007EB0: D3D40070 05C26944
	s_addk_i32 s59, 0x10                                       // 000000007EB8: B73B0010
	v_mul_f32_e32 v111, s47, v111                              // 000000007EBC: 0ADEDE2F
	s_cmp_lt_i32 s59, s58                                      // 000000007EC0: BF043A3B
	s_cbranch_scc0 label_12E0                                  // 000000007EC4: BF84031A
	s_waitcnt lgkmcnt(2)                                       // 000000007EC8: BF8CC27F
	v_mfma_f32_16x16x32_f16 v[24:27], a[112:115], a[0:3], 0    // 000000007ECC: D3D40018 1A020170
	ds_read_b128 a[32:35], v14 offset:32768                    // 000000007ED4: DBFE8000 2000000E
	ds_read_b128 a[36:39], v14 offset:33792                    // 000000007EDC: DBFE8400 2400000E
	v_mfma_f32_16x16x32_f16 v[24:27], a[116:119], a[4:7], v[24:27]// 000000007EE4: D3D40018 1C620974
	v_add_u32_e32 v4, s66, v4                                  // 000000007EEC: 68080842
	v_add_u32_e32 v5, s66, v5                                  // 000000007EF0: 680A0A42
	v_add_u32_e32 v6, s66, v6                                  // 000000007EF4: 680C0C42
	v_add_u32_e32 v7, s66, v7                                  // 000000007EF8: 680E0E42
	v_mfma_f32_16x16x32_f16 v[24:27], a[120:123], a[8:11], v[24:27]// 000000007EFC: D3D40018 1C621178
	ds_read_b128 a[40:43], v14 offset:34816                    // 000000007F04: DBFE8800 2800000E
	ds_read_b128 a[44:47], v14 offset:35840                    // 000000007F0C: DBFE8C00 2C00000E
	v_mfma_f32_16x16x32_f16 v[24:27], a[124:127], a[12:15], v[24:27]// 000000007F14: D3D40018 1C62197C
	v_mul_f32_e32 v112, s47, v112                              // 000000007F1C: 0AE0E02F
	v_mul_f32_e32 v113, s47, v113                              // 000000007F20: 0AE2E22F
	v_mfma_f32_16x16x32_f16 v[28:31], a[112:115], a[16:19], 0  // 000000007F24: D3D4001C 1A022170
	ds_read_b128 v[56:59], v14 offset:49152                    // 000000007F2C: D9FEC000 3800000E
	ds_read_b128 v[60:63], v14 offset:50176                    // 000000007F34: D9FEC400 3C00000E
	v_mfma_f32_16x16x32_f16 v[28:31], a[116:119], a[20:23], v[28:31]// 000000007F3C: D3D4001C 1C722974
	v_mul_f32_e32 v114, s47, v114                              // 000000007F44: 0AE4E42F
	v_mul_f32_e32 v115, s47, v115                              // 000000007F48: 0AE6E62F
	s_waitcnt lgkmcnt(6)                                       // 000000007F4C: BF8CC67F
	v_mfma_f32_16x16x32_f16 v[28:31], a[120:123], a[24:27], v[28:31]// 000000007F50: D3D4001C 1C723178
	ds_read_b128 v[64:67], v14 offset:51200                    // 000000007F58: D9FEC800 4000000E
	ds_read_b128 v[68:71], v14 offset:52224                    // 000000007F60: D9FECC00 4400000E
	v_mfma_f32_16x16x32_f16 v[28:31], a[124:127], a[28:31], v[28:31]// 000000007F68: D3D4001C 1C72397C
	v_fma_f32 v24, v24, s57, -v104                             // 000000007F70: D1CB0018 85A07318
	v_fma_f32 v25, v25, s57, -v105                             // 000000007F78: D1CB0019 85A47319
	s_waitcnt lgkmcnt(6)                                       // 000000007F80: BF8CC67F
	v_mfma_f32_16x16x32_f16 v[32:35], a[112:115], a[32:35], 0  // 000000007F84: D3D40020 1A024170
	ds_read_b128 v[72:75], v9 offset:28672                     // 000000007F8C: D9FE7000 48000009
	ds_read_b128 v[76:79], v9 offset:29696                     // 000000007F94: D9FE7400 4C000009
	v_mfma_f32_16x16x32_f16 v[32:35], a[116:119], a[36:39], v[32:35]// 000000007F9C: D3D40020 1C824974
	v_fma_f32 v26, v26, s57, -v106                             // 000000007FA4: D1CB001A 85A8731A
	v_fma_f32 v27, v27, s57, -v107                             // 000000007FAC: D1CB001B 85AC731B
	v_cvt_pk_f16_f32 v108, v108, v109                          // 000000007FB4: D267006C 0002DB6C
	v_cvt_pk_f16_f32 v109, v110, v111                          // 000000007FBC: D267006D 0002DF6E
	s_waitcnt lgkmcnt(6)                                       // 000000007FC4: BF8CC67F
	v_mfma_f32_16x16x32_f16 v[32:35], a[120:123], a[40:43], v[32:35]// 000000007FC8: D3D40020 1C825178
	ds_read_b128 v[80:83], v9 offset:30720                     // 000000007FD0: D9FE7800 50000009
	ds_read_b128 v[84:87], v9 offset:31744                     // 000000007FD8: D9FE7C00 54000009
	v_mfma_f32_16x16x32_f16 v[32:35], a[124:127], a[44:47], v[32:35]// 000000007FE0: D3D40020 1C82597C
	v_fma_f32 v28, v28, s57, -v104                             // 000000007FE8: D1CB001C 85A0731C
	v_fma_f32 v29, v29, s57, -v105                             // 000000007FF0: D1CB001D 85A4731D
	v_cvt_pk_f16_f32 v110, v112, v113                          // 000000007FF8: D267006E 0002E370
	v_cvt_pk_f16_f32 v111, v114, v115                          // 000000008000: D267006F 0002E772
	s_waitcnt lgkmcnt(6)                                       // 000000008008: BF8CC67F
	v_mfma_f32_16x16x32_f16 v[36:39], a[112:115], v[56:59], 0  // 00000000800C: D3D40024 0A027170
	ds_read_b64_tr_b16 v[88:89], v10 offset:28672              // 000000008014: D9C67000 5800000A
	ds_read_b64_tr_b16 v[90:91], v10 offset:28928              // 00000000801C: D9C67100 5A00000A
	ds_read_b64_tr_b16 v[92:93], v10 offset:29696              // 000000008024: D9C67400 5C00000A
	ds_read_b64_tr_b16 v[94:95], v10 offset:29952              // 00000000802C: D9C67500 5E00000A
	v_mfma_f32_16x16x32_f16 v[36:39], a[116:119], v[60:63], v[36:39]// 000000008034: D3D40024 0C927974
	v_fma_f32 v30, v30, s57, -v106                             // 00000000803C: D1CB001E 85A8731E
	v_fma_f32 v31, v31, s57, -v107                             // 000000008044: D1CB001F 85AC731F
	s_waitcnt lgkmcnt(8)                                       // 00000000804C: BF8CC87F
	v_mfma_f32_16x16x32_f16 v[36:39], a[120:123], v[64:67], v[36:39]// 000000008050: D3D40024 0C928178
	ds_read_b64_tr_b16 v[96:97], v10 offset:30720              // 000000008058: D9C67800 6000000A
	ds_read_b64_tr_b16 v[98:99], v10 offset:30976              // 000000008060: D9C67900 6200000A
	ds_read_b64_tr_b16 v[100:101], v10 offset:31744            // 000000008068: D9C67C00 6400000A
	ds_read_b64_tr_b16 v[102:103], v10 offset:32000            // 000000008070: D9C67D00 6600000A
	v_mfma_f32_16x16x32_f16 v[36:39], a[124:127], v[68:71], v[36:39]// 000000008078: D3D40024 0C92897C
	v_fma_f32 v32, v32, s57, -v104                             // 000000008080: D1CB0020 85A07320
	v_fma_f32 v33, v33, s57, -v105                             // 000000008088: D1CB0021 85A47321
	v_fma_f32 v34, v34, s57, -v106                             // 000000008090: D1CB0022 85A87322
	v_fma_f32 v35, v35, s57, -v107                             // 000000008098: D1CB0023 85AC7323
	s_cmp_lt_i32 s74, 16                                       // 0000000080A0: BF04904A
	s_cbranch_scc0 label_10D3                                  // 0000000080A4: BF84009A
	s_mov_b32 s60, 0xffe0fffe                                  // 0000000080A8: BEBC00FF FFE0FFFE
	s_mov_b32 s61, 0xe000fe00                                  // 0000000080B0: BEBD00FF E000FE00
	s_nop 0                                                    // 0000000080B8: BF800000
	s_add_u32 s62, 0, s46                                      // 0000000080BC: 803E2E80
	s_cmp_lt_i32 s74, s62                                      // 0000000080C0: BF043E4A
	s_cbranch_scc1 label_106E                                  // 0000000080C4: BF85002D
	s_cmp_eq_i32 s74, s62                                      // 0000000080C8: BF003E4A
	s_cbranch_scc1 label_1053                                  // 0000000080CC: BF850010
	s_add_u32 s62, 4, s46                                      // 0000000080D0: 803E2E84
	s_cmp_lt_i32 s74, s62                                      // 0000000080D4: BF043E4A
	s_cbranch_scc1 label_108E                                  // 0000000080D8: BF850048
	s_cmp_eq_i32 s74, s62                                      // 0000000080DC: BF003E4A
	s_cbranch_scc1 label_1073                                  // 0000000080E0: BF85002B
	s_add_u32 s62, 8, s46                                      // 0000000080E4: 803E2E88
	s_cmp_lt_i32 s74, s62                                      // 0000000080E8: BF043E4A
	s_cbranch_scc1 label_10AE                                  // 0000000080EC: BF850063
	s_cmp_eq_i32 s74, s62                                      // 0000000080F0: BF003E4A
	s_cbranch_scc1 label_1093                                  // 0000000080F4: BF850046
	s_add_u32 s62, 12, s46                                     // 0000000080F8: 803E2E8C
	s_cmp_lt_i32 s74, s62                                      // 0000000080FC: BF043E4A
	s_cbranch_scc1 label_10CE                                  // 000000008100: BF85007E
	s_cmp_eq_i32 s74, s62                                      // 000000008104: BF003E4A
	s_cbranch_scc1 label_10B3                                  // 000000008108: BF850061
	s_branch label_10D3                                        // 00000000810C: BF820080

0000000000008110 <label_1053>:
	v_cndmask_b32_e64 v24, v24, v125, s[60:61]                 // 000000008110: D1000018 00F2FB18
	s_lshl_b32 s60, s60, 1                                     // 000000008118: 8E3C813C
	s_lshl_b32 s61, s61, 1                                     // 00000000811C: 8E3D813D
	s_and_b32 s60, 0xfffeffff, s60                             // 000000008120: 863C3CFF FFFEFFFF
	s_and_b32 s61, 0xfffeffff, s61                             // 000000008128: 863D3DFF FFFEFFFF
	v_cndmask_b32_e64 v25, v25, v125, s[60:61]                 // 000000008130: D1000019 00F2FB19
	s_lshl_b32 s60, s60, 1                                     // 000000008138: 8E3C813C
	s_lshl_b32 s61, s61, 1                                     // 00000000813C: 8E3D813D
	s_and_b32 s60, 0xfffeffff, s60                             // 000000008140: 863C3CFF FFFEFFFF
	s_and_b32 s61, 0xfffeffff, s61                             // 000000008148: 863D3DFF FFFEFFFF
	v_cndmask_b32_e64 v26, v26, v125, s[60:61]                 // 000000008150: D100001A 00F2FB1A
	s_lshl_b32 s60, s60, 1                                     // 000000008158: 8E3C813C
	s_lshl_b32 s61, s61, 1                                     // 00000000815C: 8E3D813D
	s_and_b32 s60, 0xfffeffff, s60                             // 000000008160: 863C3CFF FFFEFFFF
	s_and_b32 s61, 0xfffeffff, s61                             // 000000008168: 863D3DFF FFFEFFFF
	v_cndmask_b32_e64 v27, v27, v125, s[60:61]                 // 000000008170: D100001B 00F2FB1B
	s_branch label_108E                                        // 000000008178: BF820020

000000000000817c <label_106E>:
	v_mov_b32_e32 v24, v125                                    // 00000000817C: 7E30037D
	v_mov_b32_e32 v25, v125                                    // 000000008180: 7E32037D
	v_mov_b32_e32 v26, v125                                    // 000000008184: 7E34037D
	v_mov_b32_e32 v27, v125                                    // 000000008188: 7E36037D
	s_branch label_108E                                        // 00000000818C: BF82001B

0000000000008190 <label_1073>:
	v_cndmask_b32_e64 v28, v28, v125, s[60:61]                 // 000000008190: D100001C 00F2FB1C
	s_lshl_b32 s60, s60, 1                                     // 000000008198: 8E3C813C
	s_lshl_b32 s61, s61, 1                                     // 00000000819C: 8E3D813D
	s_and_b32 s60, 0xfffeffff, s60                             // 0000000081A0: 863C3CFF FFFEFFFF
	s_and_b32 s61, 0xfffeffff, s61                             // 0000000081A8: 863D3DFF FFFEFFFF
	v_cndmask_b32_e64 v29, v29, v125, s[60:61]                 // 0000000081B0: D100001D 00F2FB1D
	s_lshl_b32 s60, s60, 1                                     // 0000000081B8: 8E3C813C
	s_lshl_b32 s61, s61, 1                                     // 0000000081BC: 8E3D813D
	s_and_b32 s60, 0xfffeffff, s60                             // 0000000081C0: 863C3CFF FFFEFFFF
	s_and_b32 s61, 0xfffeffff, s61                             // 0000000081C8: 863D3DFF FFFEFFFF
	v_cndmask_b32_e64 v30, v30, v125, s[60:61]                 // 0000000081D0: D100001E 00F2FB1E
	s_lshl_b32 s60, s60, 1                                     // 0000000081D8: 8E3C813C
	s_lshl_b32 s61, s61, 1                                     // 0000000081DC: 8E3D813D
	s_and_b32 s60, 0xfffeffff, s60                             // 0000000081E0: 863C3CFF FFFEFFFF
	s_and_b32 s61, 0xfffeffff, s61                             // 0000000081E8: 863D3DFF FFFEFFFF
	v_cndmask_b32_e64 v31, v31, v125, s[60:61]                 // 0000000081F0: D100001F 00F2FB1F
	s_branch label_10AE                                        // 0000000081F8: BF820020

00000000000081fc <label_108E>:
	v_mov_b32_e32 v28, v125                                    // 0000000081FC: 7E38037D
	v_mov_b32_e32 v29, v125                                    // 000000008200: 7E3A037D
	v_mov_b32_e32 v30, v125                                    // 000000008204: 7E3C037D
	v_mov_b32_e32 v31, v125                                    // 000000008208: 7E3E037D
	s_branch label_10AE                                        // 00000000820C: BF82001B

0000000000008210 <label_1093>:
	v_cndmask_b32_e64 v32, v32, v125, s[60:61]                 // 000000008210: D1000020 00F2FB20
	s_lshl_b32 s60, s60, 1                                     // 000000008218: 8E3C813C
	s_lshl_b32 s61, s61, 1                                     // 00000000821C: 8E3D813D
	s_and_b32 s60, 0xfffeffff, s60                             // 000000008220: 863C3CFF FFFEFFFF
	s_and_b32 s61, 0xfffeffff, s61                             // 000000008228: 863D3DFF FFFEFFFF
	v_cndmask_b32_e64 v33, v33, v125, s[60:61]                 // 000000008230: D1000021 00F2FB21
	s_lshl_b32 s60, s60, 1                                     // 000000008238: 8E3C813C
	s_lshl_b32 s61, s61, 1                                     // 00000000823C: 8E3D813D
	s_and_b32 s60, 0xfffeffff, s60                             // 000000008240: 863C3CFF FFFEFFFF
	s_and_b32 s61, 0xfffeffff, s61                             // 000000008248: 863D3DFF FFFEFFFF
	v_cndmask_b32_e64 v34, v34, v125, s[60:61]                 // 000000008250: D1000022 00F2FB22
	s_lshl_b32 s60, s60, 1                                     // 000000008258: 8E3C813C
	s_lshl_b32 s61, s61, 1                                     // 00000000825C: 8E3D813D
	s_and_b32 s60, 0xfffeffff, s60                             // 000000008260: 863C3CFF FFFEFFFF
	s_and_b32 s61, 0xfffeffff, s61                             // 000000008268: 863D3DFF FFFEFFFF
	v_cndmask_b32_e64 v35, v35, v125, s[60:61]                 // 000000008270: D1000023 00F2FB23
	s_branch label_10CE                                        // 000000008278: BF820020

000000000000827c <label_10AE>:
	v_mov_b32_e32 v32, v125                                    // 00000000827C: 7E40037D
	v_mov_b32_e32 v33, v125                                    // 000000008280: 7E42037D
	v_mov_b32_e32 v34, v125                                    // 000000008284: 7E44037D
	v_mov_b32_e32 v35, v125                                    // 000000008288: 7E46037D
	s_branch label_10CE                                        // 00000000828C: BF82001B

0000000000008290 <label_10B3>:
	v_cndmask_b32_e64 v36, v36, v125, s[60:61]                 // 000000008290: D1000024 00F2FB24
	s_lshl_b32 s60, s60, 1                                     // 000000008298: 8E3C813C
	s_lshl_b32 s61, s61, 1                                     // 00000000829C: 8E3D813D
	s_and_b32 s60, 0xfffeffff, s60                             // 0000000082A0: 863C3CFF FFFEFFFF
	s_and_b32 s61, 0xfffeffff, s61                             // 0000000082A8: 863D3DFF FFFEFFFF
	v_cndmask_b32_e64 v37, v37, v125, s[60:61]                 // 0000000082B0: D1000025 00F2FB25
	s_lshl_b32 s60, s60, 1                                     // 0000000082B8: 8E3C813C
	s_lshl_b32 s61, s61, 1                                     // 0000000082BC: 8E3D813D
	s_and_b32 s60, 0xfffeffff, s60                             // 0000000082C0: 863C3CFF FFFEFFFF
	s_and_b32 s61, 0xfffeffff, s61                             // 0000000082C8: 863D3DFF FFFEFFFF
	v_cndmask_b32_e64 v38, v38, v125, s[60:61]                 // 0000000082D0: D1000026 00F2FB26
	s_lshl_b32 s60, s60, 1                                     // 0000000082D8: 8E3C813C
	s_lshl_b32 s61, s61, 1                                     // 0000000082DC: 8E3D813D
	s_and_b32 s60, 0xfffeffff, s60                             // 0000000082E0: 863C3CFF FFFEFFFF
	s_and_b32 s61, 0xfffeffff, s61                             // 0000000082E8: 863D3DFF FFFEFFFF
	v_cndmask_b32_e64 v39, v39, v125, s[60:61]                 // 0000000082F0: D1000027 00F2FB27
	s_branch label_10D3                                        // 0000000082F8: BF820005

00000000000082fc <label_10CE>:
	v_mov_b32_e32 v36, v125                                    // 0000000082FC: 7E48037D
	v_mov_b32_e32 v37, v125                                    // 000000008300: 7E4A037D
	v_mov_b32_e32 v38, v125                                    // 000000008304: 7E4C037D
	v_mov_b32_e32 v39, v125                                    // 000000008308: 7E4E037D
	s_branch label_10D3                                        // 00000000830C: BF820000

0000000000008310 <label_10D3>:
	s_cmp_lt_i32 s99, 0x100                                    // 000000008310: BF04FF63 00000100
	s_cbranch_scc0 label_1144                                  // 000000008318: BF840069
	s_cmp_le_i32 s99, 64                                       // 00000000831C: BF05C063
	s_cbranch_scc1 label_10E2                                  // 000000008320: BF85000A
	s_cmp_le_i32 s99, 0x80                                     // 000000008324: BF05FF63 00000080
	s_cbranch_scc1 label_10FA                                  // 00000000832C: BF85001A
	s_cmp_lt_i32 s99, 0xc0                                     // 000000008330: BF04FF63 000000C0
	s_cbranch_scc1 label_1112                                  // 000000008338: BF85002F
	s_cmp_lt_i32 s99, 0x100                                    // 00000000833C: BF04FF63 00000100
	s_cbranch_scc1 label_112B                                  // 000000008344: BF850045
	s_branch label_1144                                        // 000000008348: BF82005D

000000000000834c <label_10E2>:
	s_mov_b32 s60, 0                                           // 00000000834C: BEBC0080
	v_and_b32_e32 v20, 15, v0                                  // 000000008350: 2628008F
	v_add_u32_e64 v20, v20, s60                                // 000000008354: D1340014 00007914
	v_mul_i32_i24_e64 v21, s46, 16                             // 00000000835C: D1060015 0001202E
	v_add_u32_e32 v20, v20, v21                                // 000000008364: 68282B14
	v_cmp_lt_u32_e64 s[60:61], v20, s99                        // 000000008368: D0C9003C 0000C714
	s_nop 1                                                    // 000000008370: BF800001
	v_cndmask_b32_e64 v24, v125, v24, s[60:61]                 // 000000008374: D1000018 00F2317D
	v_cndmask_b32_e64 v25, v125, v25, s[60:61]                 // 00000000837C: D1000019 00F2337D
	v_cndmask_b32_e64 v26, v125, v26, s[60:61]                 // 000000008384: D100001A 00F2357D
	v_cndmask_b32_e64 v27, v125, v27, s[60:61]                 // 00000000838C: D100001B 00F2377D
	s_branch label_110D                                        // 000000008394: BF820013

0000000000008398 <label_10FA>:
	s_mov_b32 s60, 64                                          // 000000008398: BEBC00C0
	v_and_b32_e32 v20, 15, v0                                  // 00000000839C: 2628008F
	v_add_u32_e64 v20, v20, s60                                // 0000000083A0: D1340014 00007914
	v_mul_i32_i24_e64 v21, s46, 16                             // 0000000083A8: D1060015 0001202E
	v_add_u32_e32 v20, v20, v21                                // 0000000083B0: 68282B14
	v_cmp_lt_u32_e64 s[60:61], v20, s99                        // 0000000083B4: D0C9003C 0000C714
	s_nop 1                                                    // 0000000083BC: BF800001
	v_cndmask_b32_e64 v28, v125, v28, s[60:61]                 // 0000000083C0: D100001C 00F2397D
	v_cndmask_b32_e64 v29, v125, v29, s[60:61]                 // 0000000083C8: D100001D 00F23B7D
	v_cndmask_b32_e64 v30, v125, v30, s[60:61]                 // 0000000083D0: D100001E 00F23D7D
	v_cndmask_b32_e64 v31, v125, v31, s[60:61]                 // 0000000083D8: D100001F 00F23F7D
	s_branch label_1126                                        // 0000000083E0: BF820019

00000000000083e4 <label_110D>:
	v_mov_b32_e32 v28, v125                                    // 0000000083E4: 7E38037D
	v_mov_b32_e32 v29, v125                                    // 0000000083E8: 7E3A037D
	v_mov_b32_e32 v30, v125                                    // 0000000083EC: 7E3C037D
	v_mov_b32_e32 v31, v125                                    // 0000000083F0: 7E3E037D
	s_branch label_1126                                        // 0000000083F4: BF820014

00000000000083f8 <label_1112>:
	s_mov_b32 s60, 0x80                                        // 0000000083F8: BEBC00FF 00000080
	v_and_b32_e32 v20, 15, v0                                  // 000000008400: 2628008F
	v_add_u32_e64 v20, v20, s60                                // 000000008404: D1340014 00007914
	v_mul_i32_i24_e64 v21, s46, 16                             // 00000000840C: D1060015 0001202E
	v_add_u32_e32 v20, v20, v21                                // 000000008414: 68282B14
	v_cmp_lt_u32_e64 s[60:61], v20, s99                        // 000000008418: D0C9003C 0000C714
	s_nop 1                                                    // 000000008420: BF800001
	v_cndmask_b32_e64 v32, v125, v32, s[60:61]                 // 000000008424: D1000020 00F2417D
	v_cndmask_b32_e64 v33, v125, v33, s[60:61]                 // 00000000842C: D1000021 00F2437D
	v_cndmask_b32_e64 v34, v125, v34, s[60:61]                 // 000000008434: D1000022 00F2457D
	v_cndmask_b32_e64 v35, v125, v35, s[60:61]                 // 00000000843C: D1000023 00F2477D
	s_branch label_113F                                        // 000000008444: BF820019

0000000000008448 <label_1126>:
	v_mov_b32_e32 v32, v125                                    // 000000008448: 7E40037D
	v_mov_b32_e32 v33, v125                                    // 00000000844C: 7E42037D
	v_mov_b32_e32 v34, v125                                    // 000000008450: 7E44037D
	v_mov_b32_e32 v35, v125                                    // 000000008454: 7E46037D
	s_branch label_113F                                        // 000000008458: BF820014

000000000000845c <label_112B>:
	s_mov_b32 s60, 0xc0                                        // 00000000845C: BEBC00FF 000000C0
	v_and_b32_e32 v20, 15, v0                                  // 000000008464: 2628008F
	v_add_u32_e64 v20, v20, s60                                // 000000008468: D1340014 00007914
	v_mul_i32_i24_e64 v21, s46, 16                             // 000000008470: D1060015 0001202E
	v_add_u32_e32 v20, v20, v21                                // 000000008478: 68282B14
	v_cmp_lt_u32_e64 s[60:61], v20, s99                        // 00000000847C: D0C9003C 0000C714
	s_nop 1                                                    // 000000008484: BF800001
	v_cndmask_b32_e64 v36, v125, v36, s[60:61]                 // 000000008488: D1000024 00F2497D
	v_cndmask_b32_e64 v37, v125, v37, s[60:61]                 // 000000008490: D1000025 00F24B7D
	v_cndmask_b32_e64 v38, v125, v38, s[60:61]                 // 000000008498: D1000026 00F24D7D
	v_cndmask_b32_e64 v39, v125, v39, s[60:61]                 // 0000000084A0: D1000027 00F24F7D
	s_branch label_1144                                        // 0000000084A8: BF820005

00000000000084ac <label_113F>:
	v_mov_b32_e32 v36, v125                                    // 0000000084AC: 7E48037D
	v_mov_b32_e32 v37, v125                                    // 0000000084B0: 7E4A037D
	v_mov_b32_e32 v38, v125                                    // 0000000084B4: 7E4C037D
	v_mov_b32_e32 v39, v125                                    // 0000000084B8: 7E4E037D
	s_branch label_1144                                        // 0000000084BC: BF820000

00000000000084c0 <label_1144>:
	s_addk_i32 s74, 0x1                                        // 0000000084C0: B74A0001
	s_waitcnt lgkmcnt(8)                                       // 0000000084C4: BF8CC87F
	v_mfma_f32_16x16x32_f16 v[56:59], v[72:75], a[48:51], 0    // 0000000084C8: D3D40038 12026148
	v_exp_f32_e32 v24, v24                                     // 0000000084D0: 7E304118
	v_exp_f32_e32 v25, v25                                     // 0000000084D4: 7E324119
	v_mfma_f32_16x16x32_f16 v[56:59], v[76:79], a[52:55], v[56:59]// 0000000084D8: D3D40038 14E2694C
	v_exp_f32_e32 v26, v26                                     // 0000000084E0: 7E34411A
	v_exp_f32_e32 v27, v27                                     // 0000000084E4: 7E36411B
	v_mfma_f32_16x16x32_f16 v[56:59], v[80:83], a[56:59], v[56:59]// 0000000084E8: D3D40038 14E27150
	ds_read_b64_tr_b16 a[112:113], v10 offset:12288            // 0000000084F0: DBC63000 7000000A
	ds_read_b64_tr_b16 a[114:115], v10 offset:12544            // 0000000084F8: DBC63100 7200000A
	v_mfma_f32_16x16x32_f16 v[56:59], v[84:87], a[60:63], v[56:59]// 000000008500: D3D40038 14E27954
	v_fma_f32 v36, v36, s57, -v104                             // 000000008508: D1CB0024 85A07324
	v_fma_f32 v37, v37, s57, -v105                             // 000000008510: D1CB0025 85A47325
	v_exp_f32_e32 v28, v28                                     // 000000008518: 7E38411C
	v_exp_f32_e32 v29, v29                                     // 00000000851C: 7E3A411D
	v_mfma_f32_16x16x32_f16 v[60:63], v[72:75], a[64:67], 0    // 000000008520: D3D4003C 12028148
	ds_read_b64_tr_b16 a[116:117], v10 offset:13312            // 000000008528: DBC63400 7400000A
	ds_read_b64_tr_b16 a[118:119], v10 offset:13568            // 000000008530: DBC63500 7600000A
	v_mfma_f32_16x16x32_f16 v[60:63], v[76:79], a[68:71], v[60:63]// 000000008538: D3D4003C 14F2894C
	v_fma_f32 v38, v38, s57, -v106                             // 000000008540: D1CB0026 85A87326
	v_fma_f32 v39, v39, s57, -v107                             // 000000008548: D1CB0027 85AC7327
	v_exp_f32_e32 v30, v30                                     // 000000008550: 7E3C411E
	v_exp_f32_e32 v31, v31                                     // 000000008554: 7E3E411F
	v_mfma_f32_16x16x32_f16 v[60:63], v[80:83], a[72:75], v[60:63]// 000000008558: D3D4003C 14F29150
	v_exp_f32_e32 v32, v32                                     // 000000008560: 7E404120
	v_exp_f32_e32 v33, v33                                     // 000000008564: 7E424121
	v_mfma_f32_16x16x32_f16 v[60:63], v[84:87], a[76:79], v[60:63]// 000000008568: D3D4003C 14F29954
	v_cvt_pk_f16_f32 v116, v24, v25                            // 000000008570: D2670074 00023318
	v_cvt_pk_f16_f32 v117, v26, v27                            // 000000008578: D2670075 0002371A
	v_exp_f32_e32 v34, v34                                     // 000000008580: 7E444122
	v_mfma_f32_16x16x32_f16 v[64:67], v[72:75], a[80:83], 0    // 000000008584: D3D40040 1202A148
	v_exp_f32_e32 v35, v35                                     // 00000000858C: 7E464123
	v_exp_f32_e32 v36, v36                                     // 000000008590: 7E484124
	v_mfma_f32_16x16x32_f16 v[64:67], v[76:79], a[84:87], v[64:67]// 000000008594: D3D40040 1502A94C
	v_cvt_pk_f16_f32 v118, v28, v29                            // 00000000859C: D2670076 00023B1C
	v_cvt_pk_f16_f32 v119, v30, v31                            // 0000000085A4: D2670077 00023F1E
	v_exp_f32_e32 v37, v37                                     // 0000000085AC: 7E4A4125
	v_mfma_f32_16x16x32_f16 v[64:67], v[80:83], a[88:91], v[64:67]// 0000000085B0: D3D40040 1502B150
	ds_read_b64_tr_b16 a[120:121], v10 offset:14336            // 0000000085B8: DBC63800 7800000A
	ds_read_b64_tr_b16 a[122:123], v10 offset:14592            // 0000000085C0: DBC63900 7A00000A
	v_mfma_f32_16x16x32_f16 v[64:67], v[84:87], a[92:95], v[64:67]// 0000000085C8: D3D40040 1502B954
	v_exp_f32_e32 v38, v38                                     // 0000000085D0: 7E4C4126
	v_exp_f32_e32 v39, v39                                     // 0000000085D4: 7E4E4127
	v_permlane16_swap_b32_e32 v116, v118                       // 0000000085D8: 7EE8B376
	v_mfma_f32_16x16x32_f16 v[68:71], v[72:75], a[96:99], 0    // 0000000085DC: D3D40044 1202C148
	ds_read_b64_tr_b16 a[124:125], v10 offset:15360            // 0000000085E4: DBC63C00 7C00000A
	ds_read_b64_tr_b16 a[126:127], v10 offset:15616            // 0000000085EC: DBC63D00 7E00000A
	v_mfma_f32_16x16x32_f16 v[68:71], v[76:79], a[100:103], v[68:71]// 0000000085F4: D3D40044 1512C94C
	v_cvt_pk_f16_f32 v120, v32, v33                            // 0000000085FC: D2670078 00024320
	v_cvt_pk_f16_f32 v121, v34, v35                            // 000000008604: D2670079 00024722
	v_cvt_pk_f16_f32 v122, v36, v37                            // 00000000860C: D267007A 00024B24
	v_cvt_pk_f16_f32 v123, v38, v39                            // 000000008614: D267007B 00024F26
	v_permlane16_swap_b32_e32 v117, v119                       // 00000000861C: 7EEAB377
	v_mfma_f32_16x16x32_f16 v[68:71], v[80:83], a[104:107], v[68:71]// 000000008620: D3D40044 1512D150
	v_permlane16_swap_b32_e32 v120, v122                       // 000000008628: 7EF0B37A
	v_mfma_f32_16x16x32_f16 v[68:71], v[84:87], a[108:111], v[68:71]// 00000000862C: D3D40044 1512D954
	v_permlane16_swap_b32_e32 v121, v123                       // 000000008634: 7EF2B37B
	s_waitcnt lgkmcnt(8)                                       // 000000008638: BF8CC87F
	v_mfma_f32_32x32x16_f16 v[126:141], v[88:91], v[116:119], v[126:141]// 00000000863C: D3D5007E 05FAE958
	ds_read_b64_tr_b16 a[0:1], v15                             // 000000008644: DBC60000 0000000F
	ds_read_b64_tr_b16 a[2:3], v15 offset:256                  // 00000000864C: DBC60100 0200000F
	ds_read_b64_tr_b16 a[4:5], v16                             // 000000008654: DBC60000 04000010
	ds_read_b64_tr_b16 a[6:7], v16 offset:256                  // 00000000865C: DBC60100 06000010
	buffer_atomic_pk_add_f16 v108, v4, s[32:35], 0 offen       // 000000008664: E1381000 80086C04
	v_mfma_f32_32x32x16_f16 v[142:157], v[92:95], v[116:119], v[142:157]// 00000000866C: D3D5008E 063AE95C
	v_subrev_f32_dpp v56, v124, v56 quad_perm:[0,0,0,0] row_mask:0xf bank_mask:0xf// 000000008674: 067070FA FF00007C
	v_subrev_f32_dpp v57, v124, v57 quad_perm:[1,1,1,1] row_mask:0xf bank_mask:0xf// 00000000867C: 067272FA FF00557C
	v_subrev_f32_dpp v58, v124, v58 quad_perm:[2,2,2,2] row_mask:0xf bank_mask:0xf// 000000008684: 067474FA FF00AA7C
	v_subrev_f32_dpp v59, v124, v59 quad_perm:[3,3,3,3] row_mask:0xf bank_mask:0xf// 00000000868C: 067676FA FF00FF7C
	v_subrev_f32_dpp v60, v124, v60 quad_perm:[0,0,0,0] row_mask:0xf bank_mask:0xf// 000000008694: 067878FA FF00007C
	v_subrev_f32_dpp v61, v124, v61 quad_perm:[1,1,1,1] row_mask:0xf bank_mask:0xf// 00000000869C: 067A7AFA FF00557C
	v_subrev_f32_dpp v62, v124, v62 quad_perm:[2,2,2,2] row_mask:0xf bank_mask:0xf// 0000000086A4: 067C7CFA FF00AA7C
	v_subrev_f32_dpp v63, v124, v63 quad_perm:[3,3,3,3] row_mask:0xf bank_mask:0xf// 0000000086AC: 067E7EFA FF00FF7C
	v_mul_f32_e32 v56, v24, v56                                // 0000000086B4: 0A707118
	v_mul_f32_e32 v57, v25, v57                                // 0000000086B8: 0A727319
	v_mfma_f32_32x32x16_f16 v[158:173], v[96:99], v[116:119], v[158:173]// 0000000086BC: D3D5009E 067AE960
	ds_read_b64_tr_b16 a[8:9], v15 offset:8192                 // 0000000086C4: DBC62000 0800000F
	ds_read_b64_tr_b16 a[10:11], v15 offset:8448               // 0000000086CC: DBC62100 0A00000F
	ds_read_b64_tr_b16 a[12:13], v16 offset:8192               // 0000000086D4: DBC62000 0C000010
	ds_read_b64_tr_b16 a[14:15], v16 offset:8448               // 0000000086DC: DBC62100 0E000010
	v_mfma_f32_32x32x16_f16 v[174:189], v[100:103], v[116:119], v[174:189]// 0000000086E4: D3D500AE 06BAE964
	v_mul_f32_e32 v58, v26, v58                                // 0000000086EC: 0A74751A
	v_mul_f32_e32 v59, v27, v59                                // 0000000086F0: 0A76771B
	v_mul_f32_e32 v60, v28, v60                                // 0000000086F4: 0A78791C
	v_mul_f32_e32 v61, v29, v61                                // 0000000086F8: 0A7A7B1D
	v_mul_f32_e32 v62, v30, v62                                // 0000000086FC: 0A7C7D1E
	v_mul_f32_e32 v63, v31, v63                                // 000000008700: 0A7E7F1F
	v_cvt_pk_f16_f32 v56, v56, v57                             // 000000008704: D2670038 00027338
	v_cvt_pk_f16_f32 v57, v58, v59                             // 00000000870C: D2670039 0002773A
	v_cvt_pk_f16_f32 v58, v60, v61                             // 000000008714: D267003A 00027B3C
	v_cvt_pk_f16_f32 v59, v62, v63                             // 00000000871C: D267003B 00027F3E
	v_subrev_f32_dpp v64, v124, v64 quad_perm:[0,0,0,0] row_mask:0xf bank_mask:0xf// 000000008724: 068080FA FF00007C
	v_subrev_f32_dpp v65, v124, v65 quad_perm:[1,1,1,1] row_mask:0xf bank_mask:0xf// 00000000872C: 068282FA FF00557C
	v_subrev_f32_dpp v66, v124, v66 quad_perm:[2,2,2,2] row_mask:0xf bank_mask:0xf// 000000008734: 068484FA FF00AA7C
	v_subrev_f32_dpp v67, v124, v67 quad_perm:[3,3,3,3] row_mask:0xf bank_mask:0xf// 00000000873C: 068686FA FF00FF7C
	v_mfma_f32_32x32x16_f16 v[190:205], v[88:91], v[120:123], v[190:205]// 000000008744: D3D500BE 06FAF158
	ds_read_b64_tr_b16 a[16:17], v15 offset:16384              // 00000000874C: DBC64000 1000000F
	ds_read_b64_tr_b16 a[18:19], v15 offset:16640              // 000000008754: DBC64100 1200000F
	ds_write_b64 v12, v[56:57] offset:32768                    // 00000000875C: D89A8000 0000380C
	ds_write_b64 v12, v[58:59] offset:35072                    // 000000008764: D89A8900 00003A0C
	buffer_atomic_pk_add_f16 v109, v5, s[32:35], 0 offen       // 00000000876C: E1381000 80086D05
	v_mfma_f32_32x32x16_f16 v[206:221], v[92:95], v[120:123], v[206:221]// 000000008774: D3D500CE 073AF15C
	v_subrev_f32_dpp v68, v124, v68 quad_perm:[0,0,0,0] row_mask:0xf bank_mask:0xf// 00000000877C: 068888FA FF00007C
	v_subrev_f32_dpp v69, v124, v69 quad_perm:[1,1,1,1] row_mask:0xf bank_mask:0xf// 000000008784: 068A8AFA FF00557C
	v_subrev_f32_dpp v70, v124, v70 quad_perm:[2,2,2,2] row_mask:0xf bank_mask:0xf// 00000000878C: 068C8CFA FF00AA7C
	v_subrev_f32_dpp v71, v124, v71 quad_perm:[3,3,3,3] row_mask:0xf bank_mask:0xf// 000000008794: 068E8EFA FF00FF7C
	v_mul_f32_e32 v64, v32, v64                                // 00000000879C: 0A808120
	v_mul_f32_e32 v65, v33, v65                                // 0000000087A0: 0A828321
	v_mul_f32_e32 v66, v34, v66                                // 0000000087A4: 0A848522
	v_mul_f32_e32 v67, v35, v67                                // 0000000087A8: 0A868723
	v_mul_f32_e32 v68, v36, v68                                // 0000000087AC: 0A888924
	v_mul_f32_e32 v69, v37, v69                                // 0000000087B0: 0A8A8B25
	v_mul_f32_e32 v70, v38, v70                                // 0000000087B4: 0A8C8D26
	v_mul_f32_e32 v71, v39, v71                                // 0000000087B8: 0A8E8F27
	v_cvt_pk_f16_f32 v60, v64, v65                             // 0000000087BC: D267003C 00028340
	v_cvt_pk_f16_f32 v61, v66, v67                             // 0000000087C4: D267003D 00028742
	v_cvt_pk_f16_f32 v62, v68, v69                             // 0000000087CC: D267003E 00028B44
	v_cvt_pk_f16_f32 v63, v70, v71                             // 0000000087D4: D267003F 00028F46
	v_mfma_f32_32x32x16_f16 v[222:237], v[96:99], v[120:123], v[222:237]// 0000000087DC: D3D500DE 077AF160
	ds_read_b32 v104, v13 offset:41984                         // 0000000087E4: D86CA400 6800000D
	ds_read_b32 v124, v13 offset:42240                         // 0000000087EC: D86CA500 7C00000D
	ds_write_b64 v12, v[60:61] offset:37376                    // 0000000087F4: D89A9200 00003C0C
	ds_write_b64 v12, v[62:63] offset:39680                    // 0000000087FC: D89A9B00 00003E0C
	v_mfma_f32_32x32x16_f16 v[238:253], v[100:103], v[120:123], v[238:253]// 000000008804: D3D500EE 07BAF164
	v_permlane16_swap_b32_e32 v56, v58                         // 00000000880C: 7E70B33A
	v_permlane16_swap_b32_e32 v57, v59                         // 000000008810: 7E72B33B
	s_nop 1                                                    // 000000008814: BF800001
	s_waitcnt lgkmcnt(12)                                      // 000000008818: BF8CCC7F
	v_mfma_f32_32x32x16_f16 a[128:143], a[112:115], v[56:59], a[128:143]// 00000000881C: D3D58080 0E027170
	ds_read_b64_tr_b16 a[20:21], v16 offset:16384              // 000000008824: DBC64000 14000010
	ds_read_b64_tr_b16 a[22:23], v16 offset:16640              // 00000000882C: DBC64100 16000010
	ds_read_b64_tr_b16 a[24:25], v15 offset:24576              // 000000008834: DBC66000 1800000F
	ds_read_b64_tr_b16 a[26:27], v15 offset:24832              // 00000000883C: DBC66100 1A00000F
	ds_read_b64_tr_b16 a[28:29], v16 offset:24576              // 000000008844: DBC66000 1C000010
	ds_read_b64_tr_b16 a[30:31], v16 offset:24832              // 00000000884C: DBC66100 1E000010
	ds_read_b64_tr_b16 a[32:33], v15 offset:32768              // 000000008854: DBC68000 2000000F
	ds_read_b64_tr_b16 a[34:35], v15 offset:33024              // 00000000885C: DBC68100 2200000F
	v_mfma_f32_32x32x16_f16 a[144:159], a[116:119], v[56:59], a[144:159]// 000000008864: D3D58090 0E427174
	v_permlane16_swap_b32_e32 v60, v62                         // 00000000886C: 7E78B33E
	buffer_atomic_pk_add_f16 v110, v6, s[32:35], 0 offen       // 000000008870: E1381000 80086E06
	s_waitcnt lgkmcnt(8)                                       // 000000008878: BF8CC87F
	s_barrier                                                  // 00000000887C: BF8A0000
	v_mfma_f32_32x32x16_f16 a[160:175], a[120:123], v[56:59], a[160:175]// 000000008880: D3D580A0 0E827178
	ds_read_b64_tr_b16 v[24:25], v11 offset:32768              // 000000008888: D9C68000 1800000B
	ds_read_b64_tr_b16 v[26:27], v11 offset:32800              // 000000008890: D9C68020 1A00000B
	ds_read_b64_tr_b16 v[28:29], v11 offset:33920              // 000000008898: D9C68480 1C00000B
	ds_read_b64_tr_b16 v[30:31], v11 offset:33952              // 0000000088A0: D9C684A0 1E00000B
	ds_read_b64_tr_b16 v[32:33], v11 offset:35072              // 0000000088A8: D9C68900 2000000B
	ds_read_b64_tr_b16 v[34:35], v11 offset:35104              // 0000000088B0: D9C68920 2200000B
	ds_read_b64_tr_b16 v[36:37], v11 offset:36224              // 0000000088B8: D9C68D80 2400000B
	ds_read_b64_tr_b16 v[38:39], v11 offset:36256              // 0000000088C0: D9C68DA0 2600000B
	v_mfma_f32_32x32x16_f16 a[176:191], a[124:127], v[56:59], a[176:191]// 0000000088C8: D3D580B0 0EC2717C
	v_permlane16_swap_b32_e32 v61, v63                         // 0000000088D0: 7E7AB33F
	v_mul_f32_e32 v104, s48, v104                              // 0000000088D4: 0AD0D030
	v_mfma_f32_32x32x16_f16 a[192:207], a[112:115], v[60:63], a[192:207]// 0000000088D8: D3D580C0 0F027970
	ds_read_b64_tr_b16 v[40:41], v11 offset:37376              // 0000000088E0: D9C69200 2800000B
	ds_read_b64_tr_b16 v[42:43], v11 offset:37408              // 0000000088E8: D9C69220 2A00000B
	ds_read_b64_tr_b16 v[44:45], v11 offset:38528              // 0000000088F0: D9C69680 2C00000B
	ds_read_b64_tr_b16 v[46:47], v11 offset:38560              // 0000000088F8: D9C696A0 2E00000B
	ds_read_b64_tr_b16 a[36:37], v16 offset:32768              // 000000008900: DBC68000 24000010
	ds_read_b64_tr_b16 a[38:39], v16 offset:33024              // 000000008908: DBC68100 26000010
	ds_read_b64_tr_b16 a[40:41], v15 offset:40960              // 000000008910: DBC6A000 2800000F
	ds_read_b64_tr_b16 a[42:43], v15 offset:41216              // 000000008918: DBC6A100 2A00000F
	v_mfma_f32_32x32x16_f16 a[208:223], a[116:119], v[60:63], a[208:223]// 000000008920: D3D580D0 0F427974
	v_mov_b32_dpp v107, v104 quad_perm:[3,3,3,3] row_mask:0xf bank_mask:0xf// 000000008928: 7ED602FA FF00FF68
	v_mov_b32_dpp v106, v104 quad_perm:[2,2,2,2] row_mask:0xf bank_mask:0xf// 000000008930: 7ED402FA FF00AA68
	buffer_atomic_pk_add_f16 v111, v7, s[32:35], 0 offen       // 000000008938: E1381000 80086F07
	v_mfma_f32_32x32x16_f16 a[224:239], a[120:123], v[60:63], a[224:239]// 000000008940: D3D580E0 0F827978
	ds_read_b64_tr_b16 v[48:49], v11 offset:39680              // 000000008948: D9C69B00 3000000B
	ds_read_b64_tr_b16 v[50:51], v11 offset:39712              // 000000008950: D9C69B20 3200000B
	ds_read_b64_tr_b16 v[52:53], v11 offset:40832              // 000000008958: D9C69F80 3400000B
	ds_read_b64_tr_b16 v[54:55], v11 offset:40864              // 000000008960: D9C69FA0 3600000B
	ds_read_b64_tr_b16 a[44:45], v16 offset:40960              // 000000008968: DBC6A000 2C000010
	ds_read_b64_tr_b16 a[46:47], v16 offset:41216              // 000000008970: DBC6A100 2E000010
	v_mfma_f32_32x32x16_f16 a[240:255], a[124:127], v[60:63], a[240:255]// 000000008978: D3D580F0 0FC2797C
	v_mov_b32_dpp v105, v104 quad_perm:[1,1,1,1] row_mask:0xf bank_mask:0xf// 000000008980: 7ED202FA FF005568
	v_mov_b32_dpp v104, v104 quad_perm:[0,0,0,0] row_mask:0xf bank_mask:0xf// 000000008988: 7ED002FA FF000068
	s_waitcnt vmcnt(4) lgkmcnt(6)                              // 000000008990: BF8C0674
	s_barrier                                                  // 000000008994: BF8A0000
	v_mfma_f32_16x16x32_f16 v[108:111], a[0:3], v[24:27], 0    // 000000008998: D3D4006C 0A023100
	ds_read_b64_tr_b16 v[56:57], v15 offset:49152              // 0000000089A0: D9C6C000 3800000F
	ds_read_b64_tr_b16 v[58:59], v15 offset:49408              // 0000000089A8: D9C6C100 3A00000F
	ds_read_b64_tr_b16 v[60:61], v16 offset:49152              // 0000000089B0: D9C6C000 3C000010
	ds_read_b64_tr_b16 v[62:63], v16 offset:49408              // 0000000089B8: D9C6C100 3E000010
	v_mfma_f32_16x16x32_f16 v[108:111], a[8:11], v[28:31], v[108:111]// 0000000089C0: D3D4006C 0DB23908
	s_mov_b32 m0, s84                                          // 0000000089C8: BEFC0054
	buffer_load_dwordx4 v1, s[8:11], 0 idxen lds               // 0000000089CC: E05D2000 80020001
	v_mfma_f32_16x16x32_f16 v[108:111], a[16:19], v[32:35], v[108:111]// 0000000089D4: D3D4006C 0DB24110
	ds_read_b64_tr_b16 v[64:65], v15 offset:57344              // 0000000089DC: D9C6E000 4000000F
	ds_read_b64_tr_b16 v[66:67], v15 offset:57600              // 0000000089E4: D9C6E100 4200000F
	ds_read_b64_tr_b16 v[68:69], v16 offset:57344              // 0000000089EC: D9C6E000 44000010
	ds_read_b64_tr_b16 v[70:71], v16 offset:57600              // 0000000089F4: D9C6E100 46000010
	v_mfma_f32_16x16x32_f16 v[108:111], a[24:27], v[36:39], v[108:111]// 0000000089FC: D3D4006C 0DB24918
	s_mov_b32 m0, s88                                          // 000000008A04: BEFC0058
	buffer_load_dwordx4 v254, s[20:23], 0 idxen lds            // 000000008A08: E05D2000 800500FE
	v_mfma_f32_16x16x32_f16 v[108:111], a[32:35], v[40:43], v[108:111]// 000000008A10: D3D4006C 0DB25120
	ds_read_b128 a[112:115], v9                                // 000000008A18: DBFE0000 70000009
	ds_read_b128 a[116:119], v9 offset:1024                    // 000000008A20: DBFE0400 74000009
	v_mfma_f32_16x16x32_f16 v[108:111], a[40:43], v[44:47], v[108:111]// 000000008A28: D3D4006C 0DB25928
	s_mov_b32 m0, s80                                          // 000000008A30: BEFC0050
	buffer_load_dword v8, s[24:27], 0 idxen lds                // 000000008A34: E0512000 80060008
	s_waitcnt lgkmcnt(4)                                       // 000000008A3C: BF8CC47F
	s_barrier                                                  // 000000008A40: BF8A0000
	v_mfma_f32_16x16x32_f16 v[108:111], v[56:59], v[48:51], v[108:111]// 000000008A44: D3D4006C 05B26138
	ds_read_b128 a[120:123], v9 offset:2048                    // 000000008A4C: DBFE0800 78000009
	ds_read_b128 a[124:127], v9 offset:3072                    // 000000008A54: DBFE0C00 7C000009
	v_mfma_f32_16x16x32_f16 v[108:111], v[64:67], v[52:55], v[108:111]// 000000008A5C: D3D4006C 05B26940
	s_add_u32 s60, 64, s59                                     // 000000008A64: 803C3BC0
	s_cmp_lt_u32 s60, s58                                      // 000000008A68: BF0A3A3C
	s_cselect_b32 s68, s68, 0                                  // 000000008A6C: 85448044
	s_cselect_b32 s98, s98, 0                                  // 000000008A70: 85628062
	s_cselect_b32 s69, s69, 0                                  // 000000008A74: 85458045
	v_mfma_f32_16x16x32_f16 v[112:115], a[4:7], v[24:27], 0    // 000000008A78: D3D40070 0A023104
	ds_read_b128 a[0:3], v14                                   // 000000008A80: DBFE0000 0000000E
	ds_read_b128 a[4:7], v14 offset:1024                       // 000000008A88: DBFE0400 0400000E
	v_mfma_f32_16x16x32_f16 v[112:115], a[12:15], v[28:31], v[112:115]// 000000008A90: D3D40070 0DC2390C
	v_add_u32_e32 v1, s68, v1                                  // 000000008A98: 68020244
	v_add_u32_e32 v254, s98, v254                              // 000000008A9C: 69FDFC62
	v_add_u32_e32 v8, s69, v8                                  // 000000008AA0: 68101045
	v_mfma_f32_16x16x32_f16 v[112:115], a[20:23], v[32:35], v[112:115]// 000000008AA4: D3D40070 0DC24114
	ds_read_b128 a[8:11], v14 offset:2048                      // 000000008AAC: DBFE0800 0800000E
	ds_read_b128 a[12:15], v14 offset:3072                     // 000000008AB4: DBFE0C00 0C00000E
	v_mfma_f32_16x16x32_f16 v[112:115], a[28:31], v[36:39], v[112:115]// 000000008ABC: D3D40070 0DC2491C
	v_mul_f32_e32 v108, s47, v108                              // 000000008AC4: 0AD8D82F
	v_mul_f32_e32 v109, s47, v109                              // 000000008AC8: 0ADADA2F
	v_mfma_f32_16x16x32_f16 v[112:115], a[36:39], v[40:43], v[112:115]// 000000008ACC: D3D40070 0DC25124
	ds_read_b128 a[16:19], v14 offset:16384                    // 000000008AD4: DBFE4000 1000000E
	ds_read_b128 a[20:23], v14 offset:17408                    // 000000008ADC: DBFE4400 1400000E
	v_mfma_f32_16x16x32_f16 v[112:115], a[44:47], v[44:47], v[112:115]// 000000008AE4: D3D40070 0DC2592C
	v_mul_f32_e32 v110, s47, v110                              // 000000008AEC: 0ADCDC2F
	s_cmp_ge_u32 s59, s73                                      // 000000008AF0: BF09493B
	s_cselect_b32 s66, s67, s66                                // 000000008AF4: 85424243
	s_waitcnt lgkmcnt(10)                                      // 000000008AF8: BF8CCA7F
	v_mfma_f32_16x16x32_f16 v[112:115], v[60:63], v[48:51], v[112:115]// 000000008AFC: D3D40070 05C2613C
	ds_read_b128 a[24:27], v14 offset:18432                    // 000000008B04: DBFE4800 1800000E
	ds_read_b128 a[28:31], v14 offset:19456                    // 000000008B0C: DBFE4C00 1C00000E
	v_mfma_f32_16x16x32_f16 v[112:115], v[68:71], v[52:55], v[112:115]// 000000008B14: D3D40070 05C26944
	s_addk_i32 s59, 0x10                                       // 000000008B1C: B73B0010
	v_mul_f32_e32 v111, s47, v111                              // 000000008B20: 0ADEDE2F
	s_cmp_lt_i32 s59, s58                                      // 000000008B24: BF043A3B
	s_cbranch_scc0 label_12E0                                  // 000000008B28: BF840001
	s_branch label_0667                                        // 000000008B2C: BF82F39B

0000000000008b30 <label_12E0>:
	s_nop 0                                                    // 000000008B30: BF800000
	s_nop 0                                                    // 000000008B34: BF800000
	s_branch label_1F5C                                        // 000000008B38: BF820C65

0000000000008b3c <label_12E3>:
	s_waitcnt lgkmcnt(2)                                       // 000000008B3C: BF8CC27F
	v_mfma_f32_16x16x32_f16 v[24:27], a[112:115], a[0:3], 0    // 000000008B40: D3D40018 1A020170
	v_add_u32_e32 v4, s66, v4                                  // 000000008B48: 68080842
	v_add_u32_e32 v5, s66, v5                                  // 000000008B4C: 680A0A42
	v_add_u32_e32 v6, s66, v6                                  // 000000008B50: 680C0C42
	v_add_u32_e32 v7, s66, v7                                  // 000000008B54: 680E0E42
	v_mfma_f32_16x16x32_f16 v[24:27], a[116:119], a[4:7], v[24:27]// 000000008B58: D3D40018 1C620974
	ds_read_b128 a[32:35], v14 offset:32768                    // 000000008B60: DBFE8000 2000000E
	ds_read_b128 a[36:39], v14 offset:33792                    // 000000008B68: DBFE8400 2400000E
	v_mfma_f32_16x16x32_f16 v[24:27], a[120:123], a[8:11], v[24:27]// 000000008B70: D3D40018 1C621178
	v_mul_f32_e32 v112, s47, v112                              // 000000008B78: 0AE0E02F
	v_mul_f32_e32 v113, s47, v113                              // 000000008B7C: 0AE2E22F
	v_mfma_f32_16x16x32_f16 v[24:27], a[124:127], a[12:15], v[24:27]// 000000008B80: D3D40018 1C62197C
	ds_read_b128 a[40:43], v14 offset:34816                    // 000000008B88: DBFE8800 2800000E
	ds_read_b128 a[44:47], v14 offset:35840                    // 000000008B90: DBFE8C00 2C00000E
	v_mfma_f32_16x16x32_f16 v[28:31], a[112:115], a[16:19], 0  // 000000008B98: D3D4001C 1A022170
	v_mul_f32_e32 v114, s47, v114                              // 000000008BA0: 0AE4E42F
	v_mul_f32_e32 v115, s47, v115                              // 000000008BA4: 0AE6E62F
	v_mfma_f32_16x16x32_f16 v[28:31], a[116:119], a[20:23], v[28:31]// 000000008BA8: D3D4001C 1C722974
	ds_read_b128 v[56:59], v14 offset:49152                    // 000000008BB0: D9FEC000 3800000E
	ds_read_b128 v[60:63], v14 offset:50176                    // 000000008BB8: D9FEC400 3C00000E
	s_waitcnt lgkmcnt(6)                                       // 000000008BC0: BF8CC67F
	v_mfma_f32_16x16x32_f16 v[28:31], a[120:123], a[24:27], v[28:31]// 000000008BC4: D3D4001C 1C723178
	v_fma_f32 v24, v24, s57, -v104                             // 000000008BCC: D1CB0018 85A07318
	v_fma_f32 v25, v25, s57, -v105                             // 000000008BD4: D1CB0019 85A47319
	v_mfma_f32_16x16x32_f16 v[28:31], a[124:127], a[28:31], v[28:31]// 000000008BDC: D3D4001C 1C72397C
	ds_read_b128 v[64:67], v14 offset:51200                    // 000000008BE4: D9FEC800 4000000E
	ds_read_b128 v[68:71], v14 offset:52224                    // 000000008BEC: D9FECC00 4400000E
	s_waitcnt lgkmcnt(6)                                       // 000000008BF4: BF8CC67F
	v_mfma_f32_16x16x32_f16 v[32:35], a[112:115], a[32:35], 0  // 000000008BF8: D3D40020 1A024170
	v_fma_f32 v26, v26, s57, -v106                             // 000000008C00: D1CB001A 85A8731A
	v_fma_f32 v27, v27, s57, -v107                             // 000000008C08: D1CB001B 85AC731B
	v_cvt_pk_f16_f32 v108, v108, v109                          // 000000008C10: D267006C 0002DB6C
	v_cvt_pk_f16_f32 v109, v110, v111                          // 000000008C18: D267006D 0002DF6E
	v_mfma_f32_16x16x32_f16 v[32:35], a[116:119], a[36:39], v[32:35]// 000000008C20: D3D40020 1C824974
	ds_read_b128 v[72:75], v9 offset:16384                     // 000000008C28: D9FE4000 48000009
	ds_read_b128 v[76:79], v9 offset:17408                     // 000000008C30: D9FE4400 4C000009
	s_waitcnt lgkmcnt(6)                                       // 000000008C38: BF8CC67F
	v_mfma_f32_16x16x32_f16 v[32:35], a[120:123], a[40:43], v[32:35]// 000000008C3C: D3D40020 1C825178
	v_fma_f32 v28, v28, s57, -v104                             // 000000008C44: D1CB001C 85A0731C
	v_fma_f32 v29, v29, s57, -v105                             // 000000008C4C: D1CB001D 85A4731D
	v_cvt_pk_f16_f32 v110, v112, v113                          // 000000008C54: D267006E 0002E370
	v_cvt_pk_f16_f32 v111, v114, v115                          // 000000008C5C: D267006F 0002E772
	v_mfma_f32_16x16x32_f16 v[32:35], a[124:127], a[44:47], v[32:35]// 000000008C64: D3D40020 1C82597C
	ds_read_b128 v[80:83], v9 offset:18432                     // 000000008C6C: D9FE4800 50000009
	ds_read_b128 v[84:87], v9 offset:19456                     // 000000008C74: D9FE4C00 54000009
	s_waitcnt lgkmcnt(6)                                       // 000000008C7C: BF8CC67F
	v_mfma_f32_16x16x32_f16 v[36:39], a[112:115], v[56:59], 0  // 000000008C80: D3D40024 0A027170
	v_fma_f32 v30, v30, s57, -v106                             // 000000008C88: D1CB001E 85A8731E
	v_fma_f32 v31, v31, s57, -v107                             // 000000008C90: D1CB001F 85AC731F
	v_mfma_f32_16x16x32_f16 v[36:39], a[116:119], v[60:63], v[36:39]// 000000008C98: D3D40024 0C927974
	ds_read_b64_tr_b16 v[88:89], v10 offset:16384              // 000000008CA0: D9C64000 5800000A
	ds_read_b64_tr_b16 v[90:91], v10 offset:16640              // 000000008CA8: D9C64100 5A00000A
	ds_read_b64_tr_b16 v[92:93], v10 offset:17408              // 000000008CB0: D9C64400 5C00000A
	ds_read_b64_tr_b16 v[94:95], v10 offset:17664              // 000000008CB8: D9C64500 5E00000A
	s_waitcnt lgkmcnt(8)                                       // 000000008CC0: BF8CC87F
	v_mfma_f32_16x16x32_f16 v[36:39], a[120:123], v[64:67], v[36:39]// 000000008CC4: D3D40024 0C928178
	v_fma_f32 v32, v32, s57, -v104                             // 000000008CCC: D1CB0020 85A07320
	v_fma_f32 v33, v33, s57, -v105                             // 000000008CD4: D1CB0021 85A47321
	v_fma_f32 v34, v34, s57, -v106                             // 000000008CDC: D1CB0022 85A87322
	v_fma_f32 v35, v35, s57, -v107                             // 000000008CE4: D1CB0023 85AC7323
	v_mfma_f32_16x16x32_f16 v[36:39], a[124:127], v[68:71], v[36:39]// 000000008CEC: D3D40024 0C92897C
	ds_read_b64_tr_b16 v[96:97], v10 offset:18432              // 000000008CF4: D9C64800 6000000A
	ds_read_b64_tr_b16 v[98:99], v10 offset:18688              // 000000008CFC: D9C64900 6200000A
	ds_read_b64_tr_b16 v[100:101], v10 offset:19456            // 000000008D04: D9C64C00 6400000A
	ds_read_b64_tr_b16 v[102:103], v10 offset:19712            // 000000008D0C: D9C64D00 6600000A
	s_cmp_lt_i32 s74, 16                                       // 000000008D14: BF04904A
	s_cbranch_scc0 label_13F5                                  // 000000008D18: BF84009A
	s_mov_b32 s60, 0xffe0fffe                                  // 000000008D1C: BEBC00FF FFE0FFFE
	s_mov_b32 s61, 0xe000fe00                                  // 000000008D24: BEBD00FF E000FE00
	s_nop 0                                                    // 000000008D2C: BF800000
	s_add_u32 s62, 0, s46                                      // 000000008D30: 803E2E80
	s_cmp_lt_i32 s74, s62                                      // 000000008D34: BF043E4A
	s_cbranch_scc1 label_1390                                  // 000000008D38: BF85002D
	s_cmp_eq_i32 s74, s62                                      // 000000008D3C: BF003E4A
	s_cbranch_scc1 label_1375                                  // 000000008D40: BF850010
	s_add_u32 s62, 4, s46                                      // 000000008D44: 803E2E84
	s_cmp_lt_i32 s74, s62                                      // 000000008D48: BF043E4A
	s_cbranch_scc1 label_13B0                                  // 000000008D4C: BF850048
	s_cmp_eq_i32 s74, s62                                      // 000000008D50: BF003E4A
	s_cbranch_scc1 label_1395                                  // 000000008D54: BF85002B
	s_add_u32 s62, 8, s46                                      // 000000008D58: 803E2E88
	s_cmp_lt_i32 s74, s62                                      // 000000008D5C: BF043E4A
	s_cbranch_scc1 label_13D0                                  // 000000008D60: BF850063
	s_cmp_eq_i32 s74, s62                                      // 000000008D64: BF003E4A
	s_cbranch_scc1 label_13B5                                  // 000000008D68: BF850046
	s_add_u32 s62, 12, s46                                     // 000000008D6C: 803E2E8C
	s_cmp_lt_i32 s74, s62                                      // 000000008D70: BF043E4A
	s_cbranch_scc1 label_13F0                                  // 000000008D74: BF85007E
	s_cmp_eq_i32 s74, s62                                      // 000000008D78: BF003E4A
	s_cbranch_scc1 label_13D5                                  // 000000008D7C: BF850061
	s_branch label_13F5                                        // 000000008D80: BF820080

0000000000008d84 <label_1375>:
	v_cndmask_b32_e64 v24, v24, v125, s[60:61]                 // 000000008D84: D1000018 00F2FB18
	s_lshl_b32 s60, s60, 1                                     // 000000008D8C: 8E3C813C
	s_lshl_b32 s61, s61, 1                                     // 000000008D90: 8E3D813D
	s_and_b32 s60, 0xfffeffff, s60                             // 000000008D94: 863C3CFF FFFEFFFF
	s_and_b32 s61, 0xfffeffff, s61                             // 000000008D9C: 863D3DFF FFFEFFFF
	v_cndmask_b32_e64 v25, v25, v125, s[60:61]                 // 000000008DA4: D1000019 00F2FB19
	s_lshl_b32 s60, s60, 1                                     // 000000008DAC: 8E3C813C
	s_lshl_b32 s61, s61, 1                                     // 000000008DB0: 8E3D813D
	s_and_b32 s60, 0xfffeffff, s60                             // 000000008DB4: 863C3CFF FFFEFFFF
	s_and_b32 s61, 0xfffeffff, s61                             // 000000008DBC: 863D3DFF FFFEFFFF
	v_cndmask_b32_e64 v26, v26, v125, s[60:61]                 // 000000008DC4: D100001A 00F2FB1A
	s_lshl_b32 s60, s60, 1                                     // 000000008DCC: 8E3C813C
	s_lshl_b32 s61, s61, 1                                     // 000000008DD0: 8E3D813D
	s_and_b32 s60, 0xfffeffff, s60                             // 000000008DD4: 863C3CFF FFFEFFFF
	s_and_b32 s61, 0xfffeffff, s61                             // 000000008DDC: 863D3DFF FFFEFFFF
	v_cndmask_b32_e64 v27, v27, v125, s[60:61]                 // 000000008DE4: D100001B 00F2FB1B
	s_branch label_13B0                                        // 000000008DEC: BF820020

0000000000008df0 <label_1390>:
	v_mov_b32_e32 v24, v125                                    // 000000008DF0: 7E30037D
	v_mov_b32_e32 v25, v125                                    // 000000008DF4: 7E32037D
	v_mov_b32_e32 v26, v125                                    // 000000008DF8: 7E34037D
	v_mov_b32_e32 v27, v125                                    // 000000008DFC: 7E36037D
	s_branch label_13B0                                        // 000000008E00: BF82001B

0000000000008e04 <label_1395>:
	v_cndmask_b32_e64 v28, v28, v125, s[60:61]                 // 000000008E04: D100001C 00F2FB1C
	s_lshl_b32 s60, s60, 1                                     // 000000008E0C: 8E3C813C
	s_lshl_b32 s61, s61, 1                                     // 000000008E10: 8E3D813D
	s_and_b32 s60, 0xfffeffff, s60                             // 000000008E14: 863C3CFF FFFEFFFF
	s_and_b32 s61, 0xfffeffff, s61                             // 000000008E1C: 863D3DFF FFFEFFFF
	v_cndmask_b32_e64 v29, v29, v125, s[60:61]                 // 000000008E24: D100001D 00F2FB1D
	s_lshl_b32 s60, s60, 1                                     // 000000008E2C: 8E3C813C
	s_lshl_b32 s61, s61, 1                                     // 000000008E30: 8E3D813D
	s_and_b32 s60, 0xfffeffff, s60                             // 000000008E34: 863C3CFF FFFEFFFF
	s_and_b32 s61, 0xfffeffff, s61                             // 000000008E3C: 863D3DFF FFFEFFFF
	v_cndmask_b32_e64 v30, v30, v125, s[60:61]                 // 000000008E44: D100001E 00F2FB1E
	s_lshl_b32 s60, s60, 1                                     // 000000008E4C: 8E3C813C
	s_lshl_b32 s61, s61, 1                                     // 000000008E50: 8E3D813D
	s_and_b32 s60, 0xfffeffff, s60                             // 000000008E54: 863C3CFF FFFEFFFF
	s_and_b32 s61, 0xfffeffff, s61                             // 000000008E5C: 863D3DFF FFFEFFFF
	v_cndmask_b32_e64 v31, v31, v125, s[60:61]                 // 000000008E64: D100001F 00F2FB1F
	s_branch label_13D0                                        // 000000008E6C: BF820020

0000000000008e70 <label_13B0>:
	v_mov_b32_e32 v28, v125                                    // 000000008E70: 7E38037D
	v_mov_b32_e32 v29, v125                                    // 000000008E74: 7E3A037D
	v_mov_b32_e32 v30, v125                                    // 000000008E78: 7E3C037D
	v_mov_b32_e32 v31, v125                                    // 000000008E7C: 7E3E037D
	s_branch label_13D0                                        // 000000008E80: BF82001B

0000000000008e84 <label_13B5>:
	v_cndmask_b32_e64 v32, v32, v125, s[60:61]                 // 000000008E84: D1000020 00F2FB20
	s_lshl_b32 s60, s60, 1                                     // 000000008E8C: 8E3C813C
	s_lshl_b32 s61, s61, 1                                     // 000000008E90: 8E3D813D
	s_and_b32 s60, 0xfffeffff, s60                             // 000000008E94: 863C3CFF FFFEFFFF
	s_and_b32 s61, 0xfffeffff, s61                             // 000000008E9C: 863D3DFF FFFEFFFF
	v_cndmask_b32_e64 v33, v33, v125, s[60:61]                 // 000000008EA4: D1000021 00F2FB21
	s_lshl_b32 s60, s60, 1                                     // 000000008EAC: 8E3C813C
	s_lshl_b32 s61, s61, 1                                     // 000000008EB0: 8E3D813D
	s_and_b32 s60, 0xfffeffff, s60                             // 000000008EB4: 863C3CFF FFFEFFFF
	s_and_b32 s61, 0xfffeffff, s61                             // 000000008EBC: 863D3DFF FFFEFFFF
	v_cndmask_b32_e64 v34, v34, v125, s[60:61]                 // 000000008EC4: D1000022 00F2FB22
	s_lshl_b32 s60, s60, 1                                     // 000000008ECC: 8E3C813C
	s_lshl_b32 s61, s61, 1                                     // 000000008ED0: 8E3D813D
	s_and_b32 s60, 0xfffeffff, s60                             // 000000008ED4: 863C3CFF FFFEFFFF
	s_and_b32 s61, 0xfffeffff, s61                             // 000000008EDC: 863D3DFF FFFEFFFF
	v_cndmask_b32_e64 v35, v35, v125, s[60:61]                 // 000000008EE4: D1000023 00F2FB23
	s_branch label_13F0                                        // 000000008EEC: BF820020

0000000000008ef0 <label_13D0>:
	v_mov_b32_e32 v32, v125                                    // 000000008EF0: 7E40037D
	v_mov_b32_e32 v33, v125                                    // 000000008EF4: 7E42037D
	v_mov_b32_e32 v34, v125                                    // 000000008EF8: 7E44037D
	v_mov_b32_e32 v35, v125                                    // 000000008EFC: 7E46037D
	s_branch label_13F0                                        // 000000008F00: BF82001B

0000000000008f04 <label_13D5>:
	v_cndmask_b32_e64 v36, v36, v125, s[60:61]                 // 000000008F04: D1000024 00F2FB24
	s_lshl_b32 s60, s60, 1                                     // 000000008F0C: 8E3C813C
	s_lshl_b32 s61, s61, 1                                     // 000000008F10: 8E3D813D
	s_and_b32 s60, 0xfffeffff, s60                             // 000000008F14: 863C3CFF FFFEFFFF
	s_and_b32 s61, 0xfffeffff, s61                             // 000000008F1C: 863D3DFF FFFEFFFF
	v_cndmask_b32_e64 v37, v37, v125, s[60:61]                 // 000000008F24: D1000025 00F2FB25
	s_lshl_b32 s60, s60, 1                                     // 000000008F2C: 8E3C813C
	s_lshl_b32 s61, s61, 1                                     // 000000008F30: 8E3D813D
	s_and_b32 s60, 0xfffeffff, s60                             // 000000008F34: 863C3CFF FFFEFFFF
	s_and_b32 s61, 0xfffeffff, s61                             // 000000008F3C: 863D3DFF FFFEFFFF
	v_cndmask_b32_e64 v38, v38, v125, s[60:61]                 // 000000008F44: D1000026 00F2FB26
	s_lshl_b32 s60, s60, 1                                     // 000000008F4C: 8E3C813C
	s_lshl_b32 s61, s61, 1                                     // 000000008F50: 8E3D813D
	s_and_b32 s60, 0xfffeffff, s60                             // 000000008F54: 863C3CFF FFFEFFFF
	s_and_b32 s61, 0xfffeffff, s61                             // 000000008F5C: 863D3DFF FFFEFFFF
	v_cndmask_b32_e64 v39, v39, v125, s[60:61]                 // 000000008F64: D1000027 00F2FB27
	s_branch label_13F5                                        // 000000008F6C: BF820005

0000000000008f70 <label_13F0>:
	v_mov_b32_e32 v36, v125                                    // 000000008F70: 7E48037D
	v_mov_b32_e32 v37, v125                                    // 000000008F74: 7E4A037D
	v_mov_b32_e32 v38, v125                                    // 000000008F78: 7E4C037D
	v_mov_b32_e32 v39, v125                                    // 000000008F7C: 7E4E037D
	s_branch label_13F5                                        // 000000008F80: BF820000

0000000000008f84 <label_13F5>:
	s_cmp_lt_i32 s99, 0x100                                    // 000000008F84: BF04FF63 00000100
	s_cbranch_scc0 label_1466                                  // 000000008F8C: BF840069
	s_cmp_le_i32 s99, 64                                       // 000000008F90: BF05C063
	s_cbranch_scc1 label_1404                                  // 000000008F94: BF85000A
	s_cmp_le_i32 s99, 0x80                                     // 000000008F98: BF05FF63 00000080
	s_cbranch_scc1 label_141C                                  // 000000008FA0: BF85001A
	s_cmp_lt_i32 s99, 0xc0                                     // 000000008FA4: BF04FF63 000000C0
	s_cbranch_scc1 label_1434                                  // 000000008FAC: BF85002F
	s_cmp_lt_i32 s99, 0x100                                    // 000000008FB0: BF04FF63 00000100
	s_cbranch_scc1 label_144D                                  // 000000008FB8: BF850045
	s_branch label_1466                                        // 000000008FBC: BF82005D

0000000000008fc0 <label_1404>:
	s_mov_b32 s60, 0                                           // 000000008FC0: BEBC0080
	v_and_b32_e32 v20, 15, v0                                  // 000000008FC4: 2628008F
	v_add_u32_e64 v20, v20, s60                                // 000000008FC8: D1340014 00007914
	v_mul_i32_i24_e64 v21, s46, 16                             // 000000008FD0: D1060015 0001202E
	v_add_u32_e32 v20, v20, v21                                // 000000008FD8: 68282B14
	v_cmp_lt_u32_e64 s[60:61], v20, s99                        // 000000008FDC: D0C9003C 0000C714
	s_nop 1                                                    // 000000008FE4: BF800001
	v_cndmask_b32_e64 v24, v125, v24, s[60:61]                 // 000000008FE8: D1000018 00F2317D
	v_cndmask_b32_e64 v25, v125, v25, s[60:61]                 // 000000008FF0: D1000019 00F2337D
	v_cndmask_b32_e64 v26, v125, v26, s[60:61]                 // 000000008FF8: D100001A 00F2357D
	v_cndmask_b32_e64 v27, v125, v27, s[60:61]                 // 000000009000: D100001B 00F2377D
	s_branch label_142F                                        // 000000009008: BF820013

000000000000900c <label_141C>:
	s_mov_b32 s60, 64                                          // 00000000900C: BEBC00C0
	v_and_b32_e32 v20, 15, v0                                  // 000000009010: 2628008F
	v_add_u32_e64 v20, v20, s60                                // 000000009014: D1340014 00007914
	v_mul_i32_i24_e64 v21, s46, 16                             // 00000000901C: D1060015 0001202E
	v_add_u32_e32 v20, v20, v21                                // 000000009024: 68282B14
	v_cmp_lt_u32_e64 s[60:61], v20, s99                        // 000000009028: D0C9003C 0000C714
	s_nop 1                                                    // 000000009030: BF800001
	v_cndmask_b32_e64 v28, v125, v28, s[60:61]                 // 000000009034: D100001C 00F2397D
	v_cndmask_b32_e64 v29, v125, v29, s[60:61]                 // 00000000903C: D100001D 00F23B7D
	v_cndmask_b32_e64 v30, v125, v30, s[60:61]                 // 000000009044: D100001E 00F23D7D
	v_cndmask_b32_e64 v31, v125, v31, s[60:61]                 // 00000000904C: D100001F 00F23F7D
	s_branch label_1448                                        // 000000009054: BF820019

0000000000009058 <label_142F>:
	v_mov_b32_e32 v28, v125                                    // 000000009058: 7E38037D
	v_mov_b32_e32 v29, v125                                    // 00000000905C: 7E3A037D
	v_mov_b32_e32 v30, v125                                    // 000000009060: 7E3C037D
	v_mov_b32_e32 v31, v125                                    // 000000009064: 7E3E037D
	s_branch label_1448                                        // 000000009068: BF820014

000000000000906c <label_1434>:
	s_mov_b32 s60, 0x80                                        // 00000000906C: BEBC00FF 00000080
	v_and_b32_e32 v20, 15, v0                                  // 000000009074: 2628008F
	v_add_u32_e64 v20, v20, s60                                // 000000009078: D1340014 00007914
	v_mul_i32_i24_e64 v21, s46, 16                             // 000000009080: D1060015 0001202E
	v_add_u32_e32 v20, v20, v21                                // 000000009088: 68282B14
	v_cmp_lt_u32_e64 s[60:61], v20, s99                        // 00000000908C: D0C9003C 0000C714
	s_nop 1                                                    // 000000009094: BF800001
	v_cndmask_b32_e64 v32, v125, v32, s[60:61]                 // 000000009098: D1000020 00F2417D
	v_cndmask_b32_e64 v33, v125, v33, s[60:61]                 // 0000000090A0: D1000021 00F2437D
	v_cndmask_b32_e64 v34, v125, v34, s[60:61]                 // 0000000090A8: D1000022 00F2457D
	v_cndmask_b32_e64 v35, v125, v35, s[60:61]                 // 0000000090B0: D1000023 00F2477D
	s_branch label_1461                                        // 0000000090B8: BF820019

00000000000090bc <label_1448>:
	v_mov_b32_e32 v32, v125                                    // 0000000090BC: 7E40037D
	v_mov_b32_e32 v33, v125                                    // 0000000090C0: 7E42037D
	v_mov_b32_e32 v34, v125                                    // 0000000090C4: 7E44037D
	v_mov_b32_e32 v35, v125                                    // 0000000090C8: 7E46037D
	s_branch label_1461                                        // 0000000090CC: BF820014

00000000000090d0 <label_144D>:
	s_mov_b32 s60, 0xc0                                        // 0000000090D0: BEBC00FF 000000C0
	v_and_b32_e32 v20, 15, v0                                  // 0000000090D8: 2628008F
	v_add_u32_e64 v20, v20, s60                                // 0000000090DC: D1340014 00007914
	v_mul_i32_i24_e64 v21, s46, 16                             // 0000000090E4: D1060015 0001202E
	v_add_u32_e32 v20, v20, v21                                // 0000000090EC: 68282B14
	v_cmp_lt_u32_e64 s[60:61], v20, s99                        // 0000000090F0: D0C9003C 0000C714
	s_nop 1                                                    // 0000000090F8: BF800001
	v_cndmask_b32_e64 v36, v125, v36, s[60:61]                 // 0000000090FC: D1000024 00F2497D
	v_cndmask_b32_e64 v37, v125, v37, s[60:61]                 // 000000009104: D1000025 00F24B7D
	v_cndmask_b32_e64 v38, v125, v38, s[60:61]                 // 00000000910C: D1000026 00F24D7D
	v_cndmask_b32_e64 v39, v125, v39, s[60:61]                 // 000000009114: D1000027 00F24F7D
	s_branch label_1466                                        // 00000000911C: BF820005

0000000000009120 <label_1461>:
	v_mov_b32_e32 v36, v125                                    // 000000009120: 7E48037D
	v_mov_b32_e32 v37, v125                                    // 000000009124: 7E4A037D
	v_mov_b32_e32 v38, v125                                    // 000000009128: 7E4C037D
	v_mov_b32_e32 v39, v125                                    // 00000000912C: 7E4E037D
	s_branch label_1466                                        // 000000009130: BF820000

0000000000009134 <label_1466>:
	s_addk_i32 s74, 0x1                                        // 000000009134: B74A0001
	s_waitcnt lgkmcnt(8)                                       // 000000009138: BF8CC87F
	v_mfma_f32_16x16x32_f16 v[56:59], v[72:75], a[48:51], 0    // 00000000913C: D3D40038 12026148
	v_exp_f32_e32 v24, v24                                     // 000000009144: 7E304118
	v_exp_f32_e32 v25, v25                                     // 000000009148: 7E324119
	v_mfma_f32_16x16x32_f16 v[56:59], v[76:79], a[52:55], v[56:59]// 00000000914C: D3D40038 14E2694C
	v_exp_f32_e32 v26, v26                                     // 000000009154: 7E34411A
	v_exp_f32_e32 v27, v27                                     // 000000009158: 7E36411B
	v_mfma_f32_16x16x32_f16 v[56:59], v[80:83], a[56:59], v[56:59]// 00000000915C: D3D40038 14E27150
	v_fma_f32 v36, v36, s57, -v104                             // 000000009164: D1CB0024 85A07324
	v_fma_f32 v37, v37, s57, -v105                             // 00000000916C: D1CB0025 85A47325
	v_exp_f32_e32 v28, v28                                     // 000000009174: 7E38411C
	v_exp_f32_e32 v29, v29                                     // 000000009178: 7E3A411D
	v_mfma_f32_16x16x32_f16 v[56:59], v[84:87], a[60:63], v[56:59]// 00000000917C: D3D40038 14E27954
	ds_read_b64_tr_b16 a[112:113], v10                         // 000000009184: DBC60000 7000000A
	ds_read_b64_tr_b16 a[114:115], v10 offset:256              // 00000000918C: DBC60100 7200000A
	v_mfma_f32_16x16x32_f16 v[60:63], v[72:75], a[64:67], 0    // 000000009194: D3D4003C 12028148
	v_fma_f32 v38, v38, s57, -v106                             // 00000000919C: D1CB0026 85A87326
	v_fma_f32 v39, v39, s57, -v107                             // 0000000091A4: D1CB0027 85AC7327
	v_exp_f32_e32 v30, v30                                     // 0000000091AC: 7E3C411E
	v_exp_f32_e32 v31, v31                                     // 0000000091B0: 7E3E411F
	v_mfma_f32_16x16x32_f16 v[60:63], v[76:79], a[68:71], v[60:63]// 0000000091B4: D3D4003C 14F2894C
	ds_read_b64_tr_b16 a[116:117], v10 offset:1024             // 0000000091BC: DBC60400 7400000A
	ds_read_b64_tr_b16 a[118:119], v10 offset:1280             // 0000000091C4: DBC60500 7600000A
	v_mfma_f32_16x16x32_f16 v[60:63], v[80:83], a[72:75], v[60:63]// 0000000091CC: D3D4003C 14F29150
	v_exp_f32_e32 v32, v32                                     // 0000000091D4: 7E404120
	v_exp_f32_e32 v33, v33                                     // 0000000091D8: 7E424121
	v_mfma_f32_16x16x32_f16 v[60:63], v[84:87], a[76:79], v[60:63]// 0000000091DC: D3D4003C 14F29954
	v_cvt_pk_f16_f32 v116, v24, v25                            // 0000000091E4: D2670074 00023318
	v_cvt_pk_f16_f32 v117, v26, v27                            // 0000000091EC: D2670075 0002371A
	v_exp_f32_e32 v34, v34                                     // 0000000091F4: 7E444122
	v_mfma_f32_16x16x32_f16 v[64:67], v[72:75], a[80:83], 0    // 0000000091F8: D3D40040 1202A148
	v_exp_f32_e32 v35, v35                                     // 000000009200: 7E464123
	v_exp_f32_e32 v36, v36                                     // 000000009204: 7E484124
	v_mfma_f32_16x16x32_f16 v[64:67], v[76:79], a[84:87], v[64:67]// 000000009208: D3D40040 1502A94C
	v_cvt_pk_f16_f32 v118, v28, v29                            // 000000009210: D2670076 00023B1C
	v_cvt_pk_f16_f32 v119, v30, v31                            // 000000009218: D2670077 00023F1E
	v_exp_f32_e32 v37, v37                                     // 000000009220: 7E4A4125
	v_mfma_f32_16x16x32_f16 v[64:67], v[80:83], a[88:91], v[64:67]// 000000009224: D3D40040 1502B150
	v_exp_f32_e32 v38, v38                                     // 00000000922C: 7E4C4126
	v_exp_f32_e32 v39, v39                                     // 000000009230: 7E4E4127
	v_permlane16_swap_b32_e32 v116, v118                       // 000000009234: 7EE8B376
	v_mfma_f32_16x16x32_f16 v[64:67], v[84:87], a[92:95], v[64:67]// 000000009238: D3D40040 1502B954
	ds_read_b64_tr_b16 a[120:121], v10 offset:2048             // 000000009240: DBC60800 7800000A
	ds_read_b64_tr_b16 a[122:123], v10 offset:2304             // 000000009248: DBC60900 7A00000A
	v_mfma_f32_16x16x32_f16 v[68:71], v[72:75], a[96:99], 0    // 000000009250: D3D40044 1202C148
	v_cvt_pk_f16_f32 v120, v32, v33                            // 000000009258: D2670078 00024320
	v_cvt_pk_f16_f32 v121, v34, v35                            // 000000009260: D2670079 00024722
	v_cvt_pk_f16_f32 v122, v36, v37                            // 000000009268: D267007A 00024B24
	v_cvt_pk_f16_f32 v123, v38, v39                            // 000000009270: D267007B 00024F26
	v_permlane16_swap_b32_e32 v117, v119                       // 000000009278: 7EEAB377
	v_mfma_f32_16x16x32_f16 v[68:71], v[76:79], a[100:103], v[68:71]// 00000000927C: D3D40044 1512C94C
	ds_read_b64_tr_b16 a[124:125], v10 offset:3072             // 000000009284: DBC60C00 7C00000A
	ds_read_b64_tr_b16 a[126:127], v10 offset:3328             // 00000000928C: DBC60D00 7E00000A
	v_mfma_f32_16x16x32_f16 v[68:71], v[80:83], a[104:107], v[68:71]// 000000009294: D3D40044 1512D150
	v_permlane16_swap_b32_e32 v120, v122                       // 00000000929C: 7EF0B37A
	v_mfma_f32_16x16x32_f16 v[68:71], v[84:87], a[108:111], v[68:71]// 0000000092A0: D3D40044 1512D954
	v_permlane16_swap_b32_e32 v121, v123                       // 0000000092A8: 7EF2B37B
	s_waitcnt lgkmcnt(8)                                       // 0000000092AC: BF8CC87F
	v_mfma_f32_32x32x16_f16 v[126:141], v[88:91], v[116:119], v[126:141]// 0000000092B0: D3D5007E 05FAE958
	v_subrev_f32_dpp v56, v124, v56 quad_perm:[0,0,0,0] row_mask:0xf bank_mask:0xf// 0000000092B8: 067070FA FF00007C
	v_subrev_f32_dpp v57, v124, v57 quad_perm:[1,1,1,1] row_mask:0xf bank_mask:0xf// 0000000092C0: 067272FA FF00557C
	v_subrev_f32_dpp v58, v124, v58 quad_perm:[2,2,2,2] row_mask:0xf bank_mask:0xf// 0000000092C8: 067474FA FF00AA7C
	v_subrev_f32_dpp v59, v124, v59 quad_perm:[3,3,3,3] row_mask:0xf bank_mask:0xf// 0000000092D0: 067676FA FF00FF7C
	v_subrev_f32_dpp v60, v124, v60 quad_perm:[0,0,0,0] row_mask:0xf bank_mask:0xf// 0000000092D8: 067878FA FF00007C
	v_subrev_f32_dpp v61, v124, v61 quad_perm:[1,1,1,1] row_mask:0xf bank_mask:0xf// 0000000092E0: 067A7AFA FF00557C
	v_subrev_f32_dpp v62, v124, v62 quad_perm:[2,2,2,2] row_mask:0xf bank_mask:0xf// 0000000092E8: 067C7CFA FF00AA7C
	v_subrev_f32_dpp v63, v124, v63 quad_perm:[3,3,3,3] row_mask:0xf bank_mask:0xf// 0000000092F0: 067E7EFA FF00FF7C
	v_mul_f32_e32 v56, v24, v56                                // 0000000092F8: 0A707118
	v_mul_f32_e32 v57, v25, v57                                // 0000000092FC: 0A727319
	v_mfma_f32_32x32x16_f16 v[142:157], v[92:95], v[116:119], v[142:157]// 000000009300: D3D5008E 063AE95C
	ds_read_b64_tr_b16 a[0:1], v15                             // 000000009308: DBC60000 0000000F
	ds_read_b64_tr_b16 a[2:3], v15 offset:256                  // 000000009310: DBC60100 0200000F
	ds_read_b64_tr_b16 a[4:5], v16                             // 000000009318: DBC60000 04000010
	ds_read_b64_tr_b16 a[6:7], v16 offset:256                  // 000000009320: DBC60100 06000010
	buffer_atomic_pk_add_f16 v108, v4, s[32:35], 0 offen       // 000000009328: E1381000 80086C04
	v_mfma_f32_32x32x16_f16 v[158:173], v[96:99], v[116:119], v[158:173]// 000000009330: D3D5009E 067AE960
	v_mul_f32_e32 v58, v26, v58                                // 000000009338: 0A74751A
	v_mul_f32_e32 v59, v27, v59                                // 00000000933C: 0A76771B
	v_mul_f32_e32 v60, v28, v60                                // 000000009340: 0A78791C
	v_mul_f32_e32 v61, v29, v61                                // 000000009344: 0A7A7B1D
	v_mul_f32_e32 v62, v30, v62                                // 000000009348: 0A7C7D1E
	v_mul_f32_e32 v63, v31, v63                                // 00000000934C: 0A7E7F1F
	v_cvt_pk_f16_f32 v56, v56, v57                             // 000000009350: D2670038 00027338
	v_cvt_pk_f16_f32 v57, v58, v59                             // 000000009358: D2670039 0002773A
	v_cvt_pk_f16_f32 v58, v60, v61                             // 000000009360: D267003A 00027B3C
	v_cvt_pk_f16_f32 v59, v62, v63                             // 000000009368: D267003B 00027F3E
	v_subrev_f32_dpp v64, v124, v64 quad_perm:[0,0,0,0] row_mask:0xf bank_mask:0xf// 000000009370: 068080FA FF00007C
	v_subrev_f32_dpp v65, v124, v65 quad_perm:[1,1,1,1] row_mask:0xf bank_mask:0xf// 000000009378: 068282FA FF00557C
	v_subrev_f32_dpp v66, v124, v66 quad_perm:[2,2,2,2] row_mask:0xf bank_mask:0xf// 000000009380: 068484FA FF00AA7C
	v_subrev_f32_dpp v67, v124, v67 quad_perm:[3,3,3,3] row_mask:0xf bank_mask:0xf// 000000009388: 068686FA FF00FF7C
	v_mfma_f32_32x32x16_f16 v[174:189], v[100:103], v[116:119], v[174:189]// 000000009390: D3D500AE 06BAE964
	ds_read_b64_tr_b16 a[8:9], v15 offset:8192                 // 000000009398: DBC62000 0800000F
	ds_read_b64_tr_b16 a[10:11], v15 offset:8448               // 0000000093A0: DBC62100 0A00000F
	ds_read_b64_tr_b16 a[12:13], v16 offset:8192               // 0000000093A8: DBC62000 0C000010
	ds_read_b64_tr_b16 a[14:15], v16 offset:8448               // 0000000093B0: DBC62100 0E000010
	v_mfma_f32_32x32x16_f16 v[190:205], v[88:91], v[120:123], v[190:205]// 0000000093B8: D3D500BE 06FAF158
	v_subrev_f32_dpp v68, v124, v68 quad_perm:[0,0,0,0] row_mask:0xf bank_mask:0xf// 0000000093C0: 068888FA FF00007C
	v_subrev_f32_dpp v69, v124, v69 quad_perm:[1,1,1,1] row_mask:0xf bank_mask:0xf// 0000000093C8: 068A8AFA FF00557C
	v_subrev_f32_dpp v70, v124, v70 quad_perm:[2,2,2,2] row_mask:0xf bank_mask:0xf// 0000000093D0: 068C8CFA FF00AA7C
	v_subrev_f32_dpp v71, v124, v71 quad_perm:[3,3,3,3] row_mask:0xf bank_mask:0xf// 0000000093D8: 068E8EFA FF00FF7C
	v_mul_f32_e32 v64, v32, v64                                // 0000000093E0: 0A808120
	v_mul_f32_e32 v65, v33, v65                                // 0000000093E4: 0A828321
	v_mul_f32_e32 v66, v34, v66                                // 0000000093E8: 0A848522
	v_mul_f32_e32 v67, v35, v67                                // 0000000093EC: 0A868723
	v_mul_f32_e32 v68, v36, v68                                // 0000000093F0: 0A888924
	v_mul_f32_e32 v69, v37, v69                                // 0000000093F4: 0A8A8B25
	v_mul_f32_e32 v70, v38, v70                                // 0000000093F8: 0A8C8D26
	v_mul_f32_e32 v71, v39, v71                                // 0000000093FC: 0A8E8F27
	v_cvt_pk_f16_f32 v60, v64, v65                             // 000000009400: D267003C 00028340
	v_cvt_pk_f16_f32 v61, v66, v67                             // 000000009408: D267003D 00028742
	v_cvt_pk_f16_f32 v62, v68, v69                             // 000000009410: D267003E 00028B44
	v_cvt_pk_f16_f32 v63, v70, v71                             // 000000009418: D267003F 00028F46
	v_mfma_f32_32x32x16_f16 v[206:221], v[92:95], v[120:123], v[206:221]// 000000009420: D3D500CE 073AF15C
	ds_read_b64_tr_b16 a[16:17], v15 offset:16384              // 000000009428: DBC64000 1000000F
	ds_read_b64_tr_b16 a[18:19], v15 offset:16640              // 000000009430: DBC64100 1200000F
	ds_write_b64 v12, v[56:57] offset:32768                    // 000000009438: D89A8000 0000380C
	ds_write_b64 v12, v[58:59] offset:35072                    // 000000009440: D89A8900 00003A0C
	buffer_atomic_pk_add_f16 v109, v5, s[32:35], 0 offen       // 000000009448: E1381000 80086D05
	v_mfma_f32_32x32x16_f16 v[222:237], v[96:99], v[120:123], v[222:237]// 000000009450: D3D500DE 077AF160
	v_permlane16_swap_b32_e32 v56, v58                         // 000000009458: 7E70B33A
	v_permlane16_swap_b32_e32 v57, v59                         // 00000000945C: 7E72B33B
	s_nop 1                                                    // 000000009460: BF800001
	v_mfma_f32_32x32x16_f16 v[238:253], v[100:103], v[120:123], v[238:253]// 000000009464: D3D500EE 07BAF164
	ds_read_b32 v104, v13 offset:42496                         // 00000000946C: D86CA600 6800000D
	ds_read_b32 v124, v13 offset:42752                         // 000000009474: D86CA700 7C00000D
	ds_write_b64 v12, v[60:61] offset:37376                    // 00000000947C: D89A9200 00003C0C
	ds_write_b64 v12, v[62:63] offset:39680                    // 000000009484: D89A9B00 00003E0C
	s_waitcnt lgkmcnt(12)                                      // 00000000948C: BF8CCC7F
	v_mfma_f32_32x32x16_f16 a[128:143], a[112:115], v[56:59], a[128:143]// 000000009490: D3D58080 0E027170
	v_permlane16_swap_b32_e32 v60, v62                         // 000000009498: 7E78B33E
	buffer_atomic_pk_add_f16 v110, v6, s[32:35], 0 offen       // 00000000949C: E1381000 80086E06
	v_mfma_f32_32x32x16_f16 a[144:159], a[116:119], v[56:59], a[144:159]// 0000000094A4: D3D58090 0E427174
	ds_read_b64_tr_b16 a[20:21], v16 offset:16384              // 0000000094AC: DBC64000 14000010
	ds_read_b64_tr_b16 a[22:23], v16 offset:16640              // 0000000094B4: DBC64100 16000010
	ds_read_b64_tr_b16 a[24:25], v15 offset:24576              // 0000000094BC: DBC66000 1800000F
	ds_read_b64_tr_b16 a[26:27], v15 offset:24832              // 0000000094C4: DBC66100 1A00000F
	ds_read_b64_tr_b16 a[28:29], v16 offset:24576              // 0000000094CC: DBC66000 1C000010
	ds_read_b64_tr_b16 a[30:31], v16 offset:24832              // 0000000094D4: DBC66100 1E000010
	ds_read_b64_tr_b16 a[32:33], v15 offset:32768              // 0000000094DC: DBC68000 2000000F
	ds_read_b64_tr_b16 a[34:35], v15 offset:33024              // 0000000094E4: DBC68100 2200000F
	s_waitcnt lgkmcnt(8)                                       // 0000000094EC: BF8CC87F
	s_barrier                                                  // 0000000094F0: BF8A0000
	v_mfma_f32_32x32x16_f16 a[160:175], a[120:123], v[56:59], a[160:175]// 0000000094F4: D3D580A0 0E827178
	v_permlane16_swap_b32_e32 v61, v63                         // 0000000094FC: 7E7AB33F
	v_mul_f32_e32 v104, s48, v104                              // 000000009500: 0AD0D030
	v_mfma_f32_32x32x16_f16 a[176:191], a[124:127], v[56:59], a[176:191]// 000000009504: D3D580B0 0EC2717C
	ds_read_b64_tr_b16 v[24:25], v11 offset:32768              // 00000000950C: D9C68000 1800000B
	ds_read_b64_tr_b16 v[26:27], v11 offset:32800              // 000000009514: D9C68020 1A00000B
	ds_read_b64_tr_b16 v[28:29], v11 offset:33920              // 00000000951C: D9C68480 1C00000B
	ds_read_b64_tr_b16 v[30:31], v11 offset:33952              // 000000009524: D9C684A0 1E00000B
	ds_read_b64_tr_b16 v[32:33], v11 offset:35072              // 00000000952C: D9C68900 2000000B
	ds_read_b64_tr_b16 v[34:35], v11 offset:35104              // 000000009534: D9C68920 2200000B
	ds_read_b64_tr_b16 v[36:37], v11 offset:36224              // 00000000953C: D9C68D80 2400000B
	ds_read_b64_tr_b16 v[38:39], v11 offset:36256              // 000000009544: D9C68DA0 2600000B
	v_mfma_f32_32x32x16_f16 a[192:207], a[112:115], v[60:63], a[192:207]// 00000000954C: D3D580C0 0F027970
	v_mov_b32_dpp v107, v104 quad_perm:[3,3,3,3] row_mask:0xf bank_mask:0xf// 000000009554: 7ED602FA FF00FF68
	v_mov_b32_dpp v106, v104 quad_perm:[2,2,2,2] row_mask:0xf bank_mask:0xf// 00000000955C: 7ED402FA FF00AA68
	buffer_atomic_pk_add_f16 v111, v7, s[32:35], 0 offen       // 000000009564: E1381000 80086F07
	v_mfma_f32_32x32x16_f16 a[208:223], a[116:119], v[60:63], a[208:223]// 00000000956C: D3D580D0 0F427974
	ds_read_b64_tr_b16 v[40:41], v11 offset:37376              // 000000009574: D9C69200 2800000B
	ds_read_b64_tr_b16 v[42:43], v11 offset:37408              // 00000000957C: D9C69220 2A00000B
	ds_read_b64_tr_b16 v[44:45], v11 offset:38528              // 000000009584: D9C69680 2C00000B
	ds_read_b64_tr_b16 v[46:47], v11 offset:38560              // 00000000958C: D9C696A0 2E00000B
	ds_read_b64_tr_b16 a[36:37], v16 offset:32768              // 000000009594: DBC68000 24000010
	ds_read_b64_tr_b16 a[38:39], v16 offset:33024              // 00000000959C: DBC68100 26000010
	ds_read_b64_tr_b16 a[40:41], v15 offset:40960              // 0000000095A4: DBC6A000 2800000F
	ds_read_b64_tr_b16 a[42:43], v15 offset:41216              // 0000000095AC: DBC6A100 2A00000F
	v_mfma_f32_32x32x16_f16 a[224:239], a[120:123], v[60:63], a[224:239]// 0000000095B4: D3D580E0 0F827978
	v_mov_b32_dpp v105, v104 quad_perm:[1,1,1,1] row_mask:0xf bank_mask:0xf// 0000000095BC: 7ED202FA FF005568
	v_mov_b32_dpp v104, v104 quad_perm:[0,0,0,0] row_mask:0xf bank_mask:0xf// 0000000095C4: 7ED002FA FF000068
	v_mfma_f32_32x32x16_f16 a[240:255], a[124:127], v[60:63], a[240:255]// 0000000095CC: D3D580F0 0FC2797C
	ds_read_b64_tr_b16 v[48:49], v11 offset:39680              // 0000000095D4: D9C69B00 3000000B
	ds_read_b64_tr_b16 v[50:51], v11 offset:39712              // 0000000095DC: D9C69B20 3200000B
	ds_read_b64_tr_b16 v[52:53], v11 offset:40832              // 0000000095E4: D9C69F80 3400000B
	ds_read_b64_tr_b16 v[54:55], v11 offset:40864              // 0000000095EC: D9C69FA0 3600000B
	ds_read_b64_tr_b16 a[44:45], v16 offset:40960              // 0000000095F4: DBC6A000 2C000010
	ds_read_b64_tr_b16 a[46:47], v16 offset:41216              // 0000000095FC: DBC6A100 2E000010
	s_waitcnt vmcnt(4) lgkmcnt(6)                              // 000000009604: BF8C0674
	s_barrier                                                  // 000000009608: BF8A0000
	v_mfma_f32_16x16x32_f16 v[108:111], a[0:3], v[24:27], 0    // 00000000960C: D3D4006C 0A023100
	s_mov_b32 m0, s85                                          // 000000009614: BEFC0055
	buffer_load_dwordx4 v1, s[8:11], 0 idxen lds               // 000000009618: E05D2000 80020001
	v_mfma_f32_16x16x32_f16 v[108:111], a[8:11], v[28:31], v[108:111]// 000000009620: D3D4006C 0DB23908
	ds_read_b64_tr_b16 v[56:57], v15 offset:49152              // 000000009628: D9C6C000 3800000F
	ds_read_b64_tr_b16 v[58:59], v15 offset:49408              // 000000009630: D9C6C100 3A00000F
	ds_read_b64_tr_b16 v[60:61], v16 offset:49152              // 000000009638: D9C6C000 3C000010
	ds_read_b64_tr_b16 v[62:63], v16 offset:49408              // 000000009640: D9C6C100 3E000010
	v_mfma_f32_16x16x32_f16 v[108:111], a[16:19], v[32:35], v[108:111]// 000000009648: D3D4006C 0DB24110
	s_mov_b32 m0, s89                                          // 000000009650: BEFC0059
	buffer_load_dwordx4 v254, s[20:23], 0 idxen lds            // 000000009654: E05D2000 800500FE
	v_mfma_f32_16x16x32_f16 v[108:111], a[24:27], v[36:39], v[108:111]// 00000000965C: D3D4006C 0DB24918
	ds_read_b64_tr_b16 v[64:65], v15 offset:57344              // 000000009664: D9C6E000 4000000F
	ds_read_b64_tr_b16 v[66:67], v15 offset:57600              // 00000000966C: D9C6E100 4200000F
	ds_read_b64_tr_b16 v[68:69], v16 offset:57344              // 000000009674: D9C6E000 44000010
	ds_read_b64_tr_b16 v[70:71], v16 offset:57600              // 00000000967C: D9C6E100 46000010
	v_mfma_f32_16x16x32_f16 v[108:111], a[32:35], v[40:43], v[108:111]// 000000009684: D3D4006C 0DB25120
	s_mov_b32 m0, s81                                          // 00000000968C: BEFC0051
	buffer_load_dword v8, s[24:27], 0 idxen lds                // 000000009690: E0512000 80060008
	v_mfma_f32_16x16x32_f16 v[108:111], a[40:43], v[44:47], v[108:111]// 000000009698: D3D4006C 0DB25928
	ds_read_b128 a[112:115], v9 offset:4096                    // 0000000096A0: DBFE1000 70000009
	ds_read_b128 a[116:119], v9 offset:5120                    // 0000000096A8: DBFE1400 74000009
	s_waitcnt lgkmcnt(4)                                       // 0000000096B0: BF8CC47F
	s_barrier                                                  // 0000000096B4: BF8A0000
	v_mfma_f32_16x16x32_f16 v[108:111], v[56:59], v[48:51], v[108:111]// 0000000096B8: D3D4006C 05B26138
	s_add_u32 s60, 64, s59                                     // 0000000096C0: 803C3BC0
	s_cmp_lt_u32 s60, s58                                      // 0000000096C4: BF0A3A3C
	s_cselect_b32 s68, s68, 0                                  // 0000000096C8: 85448044
	s_cselect_b32 s98, s98, 0                                  // 0000000096CC: 85628062
	s_cselect_b32 s69, s69, 0                                  // 0000000096D0: 85458045
	v_mfma_f32_16x16x32_f16 v[108:111], v[64:67], v[52:55], v[108:111]// 0000000096D4: D3D4006C 05B26940
	ds_read_b128 a[120:123], v9 offset:6144                    // 0000000096DC: DBFE1800 78000009
	ds_read_b128 a[124:127], v9 offset:7168                    // 0000000096E4: DBFE1C00 7C000009
	v_mfma_f32_16x16x32_f16 v[112:115], a[4:7], v[24:27], 0    // 0000000096EC: D3D40070 0A023104
	v_add_u32_e32 v1, s68, v1                                  // 0000000096F4: 68020244
	v_add_u32_e32 v254, s98, v254                              // 0000000096F8: 69FDFC62
	v_add_u32_e32 v8, s69, v8                                  // 0000000096FC: 68101045
	v_mfma_f32_16x16x32_f16 v[112:115], a[12:15], v[28:31], v[112:115]// 000000009700: D3D40070 0DC2390C
	ds_read_b128 a[0:3], v14                                   // 000000009708: DBFE0000 0000000E
	ds_read_b128 a[4:7], v14 offset:1024                       // 000000009710: DBFE0400 0400000E
	v_mfma_f32_16x16x32_f16 v[112:115], a[20:23], v[32:35], v[112:115]// 000000009718: D3D40070 0DC24114
	v_mul_f32_e32 v108, s47, v108                              // 000000009720: 0AD8D82F
	v_mul_f32_e32 v109, s47, v109                              // 000000009724: 0ADADA2F
	v_mfma_f32_16x16x32_f16 v[112:115], a[28:31], v[36:39], v[112:115]// 000000009728: D3D40070 0DC2491C
	ds_read_b128 a[8:11], v14 offset:2048                      // 000000009730: DBFE0800 0800000E
	ds_read_b128 a[12:15], v14 offset:3072                     // 000000009738: DBFE0C00 0C00000E
	v_mfma_f32_16x16x32_f16 v[112:115], a[36:39], v[40:43], v[112:115]// 000000009740: D3D40070 0DC25124
	v_mul_f32_e32 v110, s47, v110                              // 000000009748: 0ADCDC2F
	s_cmp_ge_u32 s59, s73                                      // 00000000974C: BF09493B
	s_cselect_b32 s66, s67, s66                                // 000000009750: 85424243
	v_mfma_f32_16x16x32_f16 v[112:115], a[44:47], v[44:47], v[112:115]// 000000009754: D3D40070 0DC2592C
	ds_read_b128 a[16:19], v14 offset:16384                    // 00000000975C: DBFE4000 1000000E
	ds_read_b128 a[20:23], v14 offset:17408                    // 000000009764: DBFE4400 1400000E
	s_waitcnt lgkmcnt(10)                                      // 00000000976C: BF8CCA7F
	v_mfma_f32_16x16x32_f16 v[112:115], v[60:63], v[48:51], v[112:115]// 000000009770: D3D40070 05C2613C
	s_addk_i32 s59, 0x10                                       // 000000009778: B73B0010
	v_mul_f32_e32 v111, s47, v111                              // 00000000977C: 0ADEDE2F
	s_cmp_lt_i32 s59, s58                                      // 000000009780: BF043A3B
	v_mfma_f32_16x16x32_f16 v[112:115], v[68:71], v[52:55], v[112:115]// 000000009784: D3D40070 05C26944
	ds_read_b128 a[24:27], v14 offset:18432                    // 00000000978C: DBFE4800 1800000E
	ds_read_b128 a[28:31], v14 offset:19456                    // 000000009794: DBFE4C00 1C00000E
	s_cbranch_scc0 label_12E0                                  // 00000000979C: BF84FCE4
	s_waitcnt lgkmcnt(2)                                       // 0000000097A0: BF8CC27F
	v_mfma_f32_16x16x32_f16 v[24:27], a[112:115], a[0:3], 0    // 0000000097A4: D3D40018 1A020170
	v_add_u32_e32 v4, s66, v4                                  // 0000000097AC: 68080842
	v_add_u32_e32 v5, s66, v5                                  // 0000000097B0: 680A0A42
	v_add_u32_e32 v6, s66, v6                                  // 0000000097B4: 680C0C42
	v_add_u32_e32 v7, s66, v7                                  // 0000000097B8: 680E0E42
	v_mfma_f32_16x16x32_f16 v[24:27], a[116:119], a[4:7], v[24:27]// 0000000097BC: D3D40018 1C620974
	ds_read_b128 a[32:35], v14 offset:32768                    // 0000000097C4: DBFE8000 2000000E
	ds_read_b128 a[36:39], v14 offset:33792                    // 0000000097CC: DBFE8400 2400000E
	v_mfma_f32_16x16x32_f16 v[24:27], a[120:123], a[8:11], v[24:27]// 0000000097D4: D3D40018 1C621178
	v_mul_f32_e32 v112, s47, v112                              // 0000000097DC: 0AE0E02F
	v_mul_f32_e32 v113, s47, v113                              // 0000000097E0: 0AE2E22F
	v_mfma_f32_16x16x32_f16 v[24:27], a[124:127], a[12:15], v[24:27]// 0000000097E4: D3D40018 1C62197C
	ds_read_b128 a[40:43], v14 offset:34816                    // 0000000097EC: DBFE8800 2800000E
	ds_read_b128 a[44:47], v14 offset:35840                    // 0000000097F4: DBFE8C00 2C00000E
	v_mfma_f32_16x16x32_f16 v[28:31], a[112:115], a[16:19], 0  // 0000000097FC: D3D4001C 1A022170
	v_mul_f32_e32 v114, s47, v114                              // 000000009804: 0AE4E42F
	v_mul_f32_e32 v115, s47, v115                              // 000000009808: 0AE6E62F
	v_mfma_f32_16x16x32_f16 v[28:31], a[116:119], a[20:23], v[28:31]// 00000000980C: D3D4001C 1C722974
	ds_read_b128 v[56:59], v14 offset:49152                    // 000000009814: D9FEC000 3800000E
	ds_read_b128 v[60:63], v14 offset:50176                    // 00000000981C: D9FEC400 3C00000E
	s_waitcnt lgkmcnt(6)                                       // 000000009824: BF8CC67F
	v_mfma_f32_16x16x32_f16 v[28:31], a[120:123], a[24:27], v[28:31]// 000000009828: D3D4001C 1C723178
	v_fma_f32 v24, v24, s57, -v104                             // 000000009830: D1CB0018 85A07318
	v_fma_f32 v25, v25, s57, -v105                             // 000000009838: D1CB0019 85A47319
	v_mfma_f32_16x16x32_f16 v[28:31], a[124:127], a[28:31], v[28:31]// 000000009840: D3D4001C 1C72397C
	ds_read_b128 v[64:67], v14 offset:51200                    // 000000009848: D9FEC800 4000000E
	ds_read_b128 v[68:71], v14 offset:52224                    // 000000009850: D9FECC00 4400000E
	s_waitcnt lgkmcnt(6)                                       // 000000009858: BF8CC67F
	v_mfma_f32_16x16x32_f16 v[32:35], a[112:115], a[32:35], 0  // 00000000985C: D3D40020 1A024170
	v_fma_f32 v26, v26, s57, -v106                             // 000000009864: D1CB001A 85A8731A
	v_fma_f32 v27, v27, s57, -v107                             // 00000000986C: D1CB001B 85AC731B
	v_cvt_pk_f16_f32 v108, v108, v109                          // 000000009874: D267006C 0002DB6C
	v_cvt_pk_f16_f32 v109, v110, v111                          // 00000000987C: D267006D 0002DF6E
	v_mfma_f32_16x16x32_f16 v[32:35], a[116:119], a[36:39], v[32:35]// 000000009884: D3D40020 1C824974
	ds_read_b128 v[72:75], v9 offset:20480                     // 00000000988C: D9FE5000 48000009
	ds_read_b128 v[76:79], v9 offset:21504                     // 000000009894: D9FE5400 4C000009
	s_waitcnt lgkmcnt(6)                                       // 00000000989C: BF8CC67F
	v_mfma_f32_16x16x32_f16 v[32:35], a[120:123], a[40:43], v[32:35]// 0000000098A0: D3D40020 1C825178
	v_fma_f32 v28, v28, s57, -v104                             // 0000000098A8: D1CB001C 85A0731C
	v_fma_f32 v29, v29, s57, -v105                             // 0000000098B0: D1CB001D 85A4731D
	v_cvt_pk_f16_f32 v110, v112, v113                          // 0000000098B8: D267006E 0002E370
	v_cvt_pk_f16_f32 v111, v114, v115                          // 0000000098C0: D267006F 0002E772
	v_mfma_f32_16x16x32_f16 v[32:35], a[124:127], a[44:47], v[32:35]// 0000000098C8: D3D40020 1C82597C
	ds_read_b128 v[80:83], v9 offset:22528                     // 0000000098D0: D9FE5800 50000009
	ds_read_b128 v[84:87], v9 offset:23552                     // 0000000098D8: D9FE5C00 54000009
	s_waitcnt lgkmcnt(6)                                       // 0000000098E0: BF8CC67F
	v_mfma_f32_16x16x32_f16 v[36:39], a[112:115], v[56:59], 0  // 0000000098E4: D3D40024 0A027170
	v_fma_f32 v30, v30, s57, -v106                             // 0000000098EC: D1CB001E 85A8731E
	v_fma_f32 v31, v31, s57, -v107                             // 0000000098F4: D1CB001F 85AC731F
	v_mfma_f32_16x16x32_f16 v[36:39], a[116:119], v[60:63], v[36:39]// 0000000098FC: D3D40024 0C927974
	ds_read_b64_tr_b16 v[88:89], v10 offset:20480              // 000000009904: D9C65000 5800000A
	ds_read_b64_tr_b16 v[90:91], v10 offset:20736              // 00000000990C: D9C65100 5A00000A
	ds_read_b64_tr_b16 v[92:93], v10 offset:21504              // 000000009914: D9C65400 5C00000A
	ds_read_b64_tr_b16 v[94:95], v10 offset:21760              // 00000000991C: D9C65500 5E00000A
	s_waitcnt lgkmcnt(8)                                       // 000000009924: BF8CC87F
	v_mfma_f32_16x16x32_f16 v[36:39], a[120:123], v[64:67], v[36:39]// 000000009928: D3D40024 0C928178
	v_fma_f32 v32, v32, s57, -v104                             // 000000009930: D1CB0020 85A07320
	v_fma_f32 v33, v33, s57, -v105                             // 000000009938: D1CB0021 85A47321
	v_fma_f32 v34, v34, s57, -v106                             // 000000009940: D1CB0022 85A87322
	v_fma_f32 v35, v35, s57, -v107                             // 000000009948: D1CB0023 85AC7323
	v_mfma_f32_16x16x32_f16 v[36:39], a[124:127], v[68:71], v[36:39]// 000000009950: D3D40024 0C92897C
	ds_read_b64_tr_b16 v[96:97], v10 offset:22528              // 000000009958: D9C65800 6000000A
	ds_read_b64_tr_b16 v[98:99], v10 offset:22784              // 000000009960: D9C65900 6200000A
	ds_read_b64_tr_b16 v[100:101], v10 offset:23552            // 000000009968: D9C65C00 6400000A
	ds_read_b64_tr_b16 v[102:103], v10 offset:23808            // 000000009970: D9C65D00 6600000A
	s_cmp_lt_i32 s74, 16                                       // 000000009978: BF04904A
	s_cbranch_scc0 label_1713                                  // 00000000997C: BF84009A
	s_mov_b32 s60, 0xffe0fffe                                  // 000000009980: BEBC00FF FFE0FFFE
	s_mov_b32 s61, 0xe000fe00                                  // 000000009988: BEBD00FF E000FE00
	s_nop 0                                                    // 000000009990: BF800000
	s_add_u32 s62, 0, s46                                      // 000000009994: 803E2E80
	s_cmp_lt_i32 s74, s62                                      // 000000009998: BF043E4A
	s_cbranch_scc1 label_16AE                                  // 00000000999C: BF85002D
	s_cmp_eq_i32 s74, s62                                      // 0000000099A0: BF003E4A
	s_cbranch_scc1 label_1693                                  // 0000000099A4: BF850010
	s_add_u32 s62, 4, s46                                      // 0000000099A8: 803E2E84
	s_cmp_lt_i32 s74, s62                                      // 0000000099AC: BF043E4A
	s_cbranch_scc1 label_16CE                                  // 0000000099B0: BF850048
	s_cmp_eq_i32 s74, s62                                      // 0000000099B4: BF003E4A
	s_cbranch_scc1 label_16B3                                  // 0000000099B8: BF85002B
	s_add_u32 s62, 8, s46                                      // 0000000099BC: 803E2E88
	s_cmp_lt_i32 s74, s62                                      // 0000000099C0: BF043E4A
	s_cbranch_scc1 label_16EE                                  // 0000000099C4: BF850063
	s_cmp_eq_i32 s74, s62                                      // 0000000099C8: BF003E4A
	s_cbranch_scc1 label_16D3                                  // 0000000099CC: BF850046
	s_add_u32 s62, 12, s46                                     // 0000000099D0: 803E2E8C
	s_cmp_lt_i32 s74, s62                                      // 0000000099D4: BF043E4A
	s_cbranch_scc1 label_170E                                  // 0000000099D8: BF85007E
	s_cmp_eq_i32 s74, s62                                      // 0000000099DC: BF003E4A
	s_cbranch_scc1 label_16F3                                  // 0000000099E0: BF850061
	s_branch label_1713                                        // 0000000099E4: BF820080

00000000000099e8 <label_1693>:
	v_cndmask_b32_e64 v24, v24, v125, s[60:61]                 // 0000000099E8: D1000018 00F2FB18
	s_lshl_b32 s60, s60, 1                                     // 0000000099F0: 8E3C813C
	s_lshl_b32 s61, s61, 1                                     // 0000000099F4: 8E3D813D
	s_and_b32 s60, 0xfffeffff, s60                             // 0000000099F8: 863C3CFF FFFEFFFF
	s_and_b32 s61, 0xfffeffff, s61                             // 000000009A00: 863D3DFF FFFEFFFF
	v_cndmask_b32_e64 v25, v25, v125, s[60:61]                 // 000000009A08: D1000019 00F2FB19
	s_lshl_b32 s60, s60, 1                                     // 000000009A10: 8E3C813C
	s_lshl_b32 s61, s61, 1                                     // 000000009A14: 8E3D813D
	s_and_b32 s60, 0xfffeffff, s60                             // 000000009A18: 863C3CFF FFFEFFFF
	s_and_b32 s61, 0xfffeffff, s61                             // 000000009A20: 863D3DFF FFFEFFFF
	v_cndmask_b32_e64 v26, v26, v125, s[60:61]                 // 000000009A28: D100001A 00F2FB1A
	s_lshl_b32 s60, s60, 1                                     // 000000009A30: 8E3C813C
	s_lshl_b32 s61, s61, 1                                     // 000000009A34: 8E3D813D
	s_and_b32 s60, 0xfffeffff, s60                             // 000000009A38: 863C3CFF FFFEFFFF
	s_and_b32 s61, 0xfffeffff, s61                             // 000000009A40: 863D3DFF FFFEFFFF
	v_cndmask_b32_e64 v27, v27, v125, s[60:61]                 // 000000009A48: D100001B 00F2FB1B
	s_branch label_16CE                                        // 000000009A50: BF820020

0000000000009a54 <label_16AE>:
	v_mov_b32_e32 v24, v125                                    // 000000009A54: 7E30037D
	v_mov_b32_e32 v25, v125                                    // 000000009A58: 7E32037D
	v_mov_b32_e32 v26, v125                                    // 000000009A5C: 7E34037D
	v_mov_b32_e32 v27, v125                                    // 000000009A60: 7E36037D
	s_branch label_16CE                                        // 000000009A64: BF82001B

0000000000009a68 <label_16B3>:
	v_cndmask_b32_e64 v28, v28, v125, s[60:61]                 // 000000009A68: D100001C 00F2FB1C
	s_lshl_b32 s60, s60, 1                                     // 000000009A70: 8E3C813C
	s_lshl_b32 s61, s61, 1                                     // 000000009A74: 8E3D813D
	s_and_b32 s60, 0xfffeffff, s60                             // 000000009A78: 863C3CFF FFFEFFFF
	s_and_b32 s61, 0xfffeffff, s61                             // 000000009A80: 863D3DFF FFFEFFFF
	v_cndmask_b32_e64 v29, v29, v125, s[60:61]                 // 000000009A88: D100001D 00F2FB1D
	s_lshl_b32 s60, s60, 1                                     // 000000009A90: 8E3C813C
	s_lshl_b32 s61, s61, 1                                     // 000000009A94: 8E3D813D
	s_and_b32 s60, 0xfffeffff, s60                             // 000000009A98: 863C3CFF FFFEFFFF
	s_and_b32 s61, 0xfffeffff, s61                             // 000000009AA0: 863D3DFF FFFEFFFF
	v_cndmask_b32_e64 v30, v30, v125, s[60:61]                 // 000000009AA8: D100001E 00F2FB1E
	s_lshl_b32 s60, s60, 1                                     // 000000009AB0: 8E3C813C
	s_lshl_b32 s61, s61, 1                                     // 000000009AB4: 8E3D813D
	s_and_b32 s60, 0xfffeffff, s60                             // 000000009AB8: 863C3CFF FFFEFFFF
	s_and_b32 s61, 0xfffeffff, s61                             // 000000009AC0: 863D3DFF FFFEFFFF
	v_cndmask_b32_e64 v31, v31, v125, s[60:61]                 // 000000009AC8: D100001F 00F2FB1F
	s_branch label_16EE                                        // 000000009AD0: BF820020

0000000000009ad4 <label_16CE>:
	v_mov_b32_e32 v28, v125                                    // 000000009AD4: 7E38037D
	v_mov_b32_e32 v29, v125                                    // 000000009AD8: 7E3A037D
	v_mov_b32_e32 v30, v125                                    // 000000009ADC: 7E3C037D
	v_mov_b32_e32 v31, v125                                    // 000000009AE0: 7E3E037D
	s_branch label_16EE                                        // 000000009AE4: BF82001B

0000000000009ae8 <label_16D3>:
	v_cndmask_b32_e64 v32, v32, v125, s[60:61]                 // 000000009AE8: D1000020 00F2FB20
	s_lshl_b32 s60, s60, 1                                     // 000000009AF0: 8E3C813C
	s_lshl_b32 s61, s61, 1                                     // 000000009AF4: 8E3D813D
	s_and_b32 s60, 0xfffeffff, s60                             // 000000009AF8: 863C3CFF FFFEFFFF
	s_and_b32 s61, 0xfffeffff, s61                             // 000000009B00: 863D3DFF FFFEFFFF
	v_cndmask_b32_e64 v33, v33, v125, s[60:61]                 // 000000009B08: D1000021 00F2FB21
	s_lshl_b32 s60, s60, 1                                     // 000000009B10: 8E3C813C
	s_lshl_b32 s61, s61, 1                                     // 000000009B14: 8E3D813D
	s_and_b32 s60, 0xfffeffff, s60                             // 000000009B18: 863C3CFF FFFEFFFF
	s_and_b32 s61, 0xfffeffff, s61                             // 000000009B20: 863D3DFF FFFEFFFF
	v_cndmask_b32_e64 v34, v34, v125, s[60:61]                 // 000000009B28: D1000022 00F2FB22
	s_lshl_b32 s60, s60, 1                                     // 000000009B30: 8E3C813C
	s_lshl_b32 s61, s61, 1                                     // 000000009B34: 8E3D813D
	s_and_b32 s60, 0xfffeffff, s60                             // 000000009B38: 863C3CFF FFFEFFFF
	s_and_b32 s61, 0xfffeffff, s61                             // 000000009B40: 863D3DFF FFFEFFFF
	v_cndmask_b32_e64 v35, v35, v125, s[60:61]                 // 000000009B48: D1000023 00F2FB23
	s_branch label_170E                                        // 000000009B50: BF820020

0000000000009b54 <label_16EE>:
	v_mov_b32_e32 v32, v125                                    // 000000009B54: 7E40037D
	v_mov_b32_e32 v33, v125                                    // 000000009B58: 7E42037D
	v_mov_b32_e32 v34, v125                                    // 000000009B5C: 7E44037D
	v_mov_b32_e32 v35, v125                                    // 000000009B60: 7E46037D
	s_branch label_170E                                        // 000000009B64: BF82001B

0000000000009b68 <label_16F3>:
	v_cndmask_b32_e64 v36, v36, v125, s[60:61]                 // 000000009B68: D1000024 00F2FB24
	s_lshl_b32 s60, s60, 1                                     // 000000009B70: 8E3C813C
	s_lshl_b32 s61, s61, 1                                     // 000000009B74: 8E3D813D
	s_and_b32 s60, 0xfffeffff, s60                             // 000000009B78: 863C3CFF FFFEFFFF
	s_and_b32 s61, 0xfffeffff, s61                             // 000000009B80: 863D3DFF FFFEFFFF
	v_cndmask_b32_e64 v37, v37, v125, s[60:61]                 // 000000009B88: D1000025 00F2FB25
	s_lshl_b32 s60, s60, 1                                     // 000000009B90: 8E3C813C
	s_lshl_b32 s61, s61, 1                                     // 000000009B94: 8E3D813D
	s_and_b32 s60, 0xfffeffff, s60                             // 000000009B98: 863C3CFF FFFEFFFF
	s_and_b32 s61, 0xfffeffff, s61                             // 000000009BA0: 863D3DFF FFFEFFFF
	v_cndmask_b32_e64 v38, v38, v125, s[60:61]                 // 000000009BA8: D1000026 00F2FB26
	s_lshl_b32 s60, s60, 1                                     // 000000009BB0: 8E3C813C
	s_lshl_b32 s61, s61, 1                                     // 000000009BB4: 8E3D813D
	s_and_b32 s60, 0xfffeffff, s60                             // 000000009BB8: 863C3CFF FFFEFFFF
	s_and_b32 s61, 0xfffeffff, s61                             // 000000009BC0: 863D3DFF FFFEFFFF
	v_cndmask_b32_e64 v39, v39, v125, s[60:61]                 // 000000009BC8: D1000027 00F2FB27
	s_branch label_1713                                        // 000000009BD0: BF820005

0000000000009bd4 <label_170E>:
	v_mov_b32_e32 v36, v125                                    // 000000009BD4: 7E48037D
	v_mov_b32_e32 v37, v125                                    // 000000009BD8: 7E4A037D
	v_mov_b32_e32 v38, v125                                    // 000000009BDC: 7E4C037D
	v_mov_b32_e32 v39, v125                                    // 000000009BE0: 7E4E037D
	s_branch label_1713                                        // 000000009BE4: BF820000

0000000000009be8 <label_1713>:
	s_cmp_lt_i32 s99, 0x100                                    // 000000009BE8: BF04FF63 00000100
	s_cbranch_scc0 label_1784                                  // 000000009BF0: BF840069
	s_cmp_le_i32 s99, 64                                       // 000000009BF4: BF05C063
	s_cbranch_scc1 label_1722                                  // 000000009BF8: BF85000A
	s_cmp_le_i32 s99, 0x80                                     // 000000009BFC: BF05FF63 00000080
	s_cbranch_scc1 label_173A                                  // 000000009C04: BF85001A
	s_cmp_lt_i32 s99, 0xc0                                     // 000000009C08: BF04FF63 000000C0
	s_cbranch_scc1 label_1752                                  // 000000009C10: BF85002F
	s_cmp_lt_i32 s99, 0x100                                    // 000000009C14: BF04FF63 00000100
	s_cbranch_scc1 label_176B                                  // 000000009C1C: BF850045
	s_branch label_1784                                        // 000000009C20: BF82005D

0000000000009c24 <label_1722>:
	s_mov_b32 s60, 0                                           // 000000009C24: BEBC0080
	v_and_b32_e32 v20, 15, v0                                  // 000000009C28: 2628008F
	v_add_u32_e64 v20, v20, s60                                // 000000009C2C: D1340014 00007914
	v_mul_i32_i24_e64 v21, s46, 16                             // 000000009C34: D1060015 0001202E
	v_add_u32_e32 v20, v20, v21                                // 000000009C3C: 68282B14
	v_cmp_lt_u32_e64 s[60:61], v20, s99                        // 000000009C40: D0C9003C 0000C714
	s_nop 1                                                    // 000000009C48: BF800001
	v_cndmask_b32_e64 v24, v125, v24, s[60:61]                 // 000000009C4C: D1000018 00F2317D
	v_cndmask_b32_e64 v25, v125, v25, s[60:61]                 // 000000009C54: D1000019 00F2337D
	v_cndmask_b32_e64 v26, v125, v26, s[60:61]                 // 000000009C5C: D100001A 00F2357D
	v_cndmask_b32_e64 v27, v125, v27, s[60:61]                 // 000000009C64: D100001B 00F2377D
	s_branch label_174D                                        // 000000009C6C: BF820013

0000000000009c70 <label_173A>:
	s_mov_b32 s60, 64                                          // 000000009C70: BEBC00C0
	v_and_b32_e32 v20, 15, v0                                  // 000000009C74: 2628008F
	v_add_u32_e64 v20, v20, s60                                // 000000009C78: D1340014 00007914
	v_mul_i32_i24_e64 v21, s46, 16                             // 000000009C80: D1060015 0001202E
	v_add_u32_e32 v20, v20, v21                                // 000000009C88: 68282B14
	v_cmp_lt_u32_e64 s[60:61], v20, s99                        // 000000009C8C: D0C9003C 0000C714
	s_nop 1                                                    // 000000009C94: BF800001
	v_cndmask_b32_e64 v28, v125, v28, s[60:61]                 // 000000009C98: D100001C 00F2397D
	v_cndmask_b32_e64 v29, v125, v29, s[60:61]                 // 000000009CA0: D100001D 00F23B7D
	v_cndmask_b32_e64 v30, v125, v30, s[60:61]                 // 000000009CA8: D100001E 00F23D7D
	v_cndmask_b32_e64 v31, v125, v31, s[60:61]                 // 000000009CB0: D100001F 00F23F7D
	s_branch label_1766                                        // 000000009CB8: BF820019

0000000000009cbc <label_174D>:
	v_mov_b32_e32 v28, v125                                    // 000000009CBC: 7E38037D
	v_mov_b32_e32 v29, v125                                    // 000000009CC0: 7E3A037D
	v_mov_b32_e32 v30, v125                                    // 000000009CC4: 7E3C037D
	v_mov_b32_e32 v31, v125                                    // 000000009CC8: 7E3E037D
	s_branch label_1766                                        // 000000009CCC: BF820014

0000000000009cd0 <label_1752>:
	s_mov_b32 s60, 0x80                                        // 000000009CD0: BEBC00FF 00000080
	v_and_b32_e32 v20, 15, v0                                  // 000000009CD8: 2628008F
	v_add_u32_e64 v20, v20, s60                                // 000000009CDC: D1340014 00007914
	v_mul_i32_i24_e64 v21, s46, 16                             // 000000009CE4: D1060015 0001202E
	v_add_u32_e32 v20, v20, v21                                // 000000009CEC: 68282B14
	v_cmp_lt_u32_e64 s[60:61], v20, s99                        // 000000009CF0: D0C9003C 0000C714
	s_nop 1                                                    // 000000009CF8: BF800001
	v_cndmask_b32_e64 v32, v125, v32, s[60:61]                 // 000000009CFC: D1000020 00F2417D
	v_cndmask_b32_e64 v33, v125, v33, s[60:61]                 // 000000009D04: D1000021 00F2437D
	v_cndmask_b32_e64 v34, v125, v34, s[60:61]                 // 000000009D0C: D1000022 00F2457D
	v_cndmask_b32_e64 v35, v125, v35, s[60:61]                 // 000000009D14: D1000023 00F2477D
	s_branch label_177F                                        // 000000009D1C: BF820019

0000000000009d20 <label_1766>:
	v_mov_b32_e32 v32, v125                                    // 000000009D20: 7E40037D
	v_mov_b32_e32 v33, v125                                    // 000000009D24: 7E42037D
	v_mov_b32_e32 v34, v125                                    // 000000009D28: 7E44037D
	v_mov_b32_e32 v35, v125                                    // 000000009D2C: 7E46037D
	s_branch label_177F                                        // 000000009D30: BF820014

0000000000009d34 <label_176B>:
	s_mov_b32 s60, 0xc0                                        // 000000009D34: BEBC00FF 000000C0
	v_and_b32_e32 v20, 15, v0                                  // 000000009D3C: 2628008F
	v_add_u32_e64 v20, v20, s60                                // 000000009D40: D1340014 00007914
	v_mul_i32_i24_e64 v21, s46, 16                             // 000000009D48: D1060015 0001202E
	v_add_u32_e32 v20, v20, v21                                // 000000009D50: 68282B14
	v_cmp_lt_u32_e64 s[60:61], v20, s99                        // 000000009D54: D0C9003C 0000C714
	s_nop 1                                                    // 000000009D5C: BF800001
	v_cndmask_b32_e64 v36, v125, v36, s[60:61]                 // 000000009D60: D1000024 00F2497D
	v_cndmask_b32_e64 v37, v125, v37, s[60:61]                 // 000000009D68: D1000025 00F24B7D
	v_cndmask_b32_e64 v38, v125, v38, s[60:61]                 // 000000009D70: D1000026 00F24D7D
	v_cndmask_b32_e64 v39, v125, v39, s[60:61]                 // 000000009D78: D1000027 00F24F7D
	s_branch label_1784                                        // 000000009D80: BF820005

0000000000009d84 <label_177F>:
	v_mov_b32_e32 v36, v125                                    // 000000009D84: 7E48037D
	v_mov_b32_e32 v37, v125                                    // 000000009D88: 7E4A037D
	v_mov_b32_e32 v38, v125                                    // 000000009D8C: 7E4C037D
	v_mov_b32_e32 v39, v125                                    // 000000009D90: 7E4E037D
	s_branch label_1784                                        // 000000009D94: BF820000

0000000000009d98 <label_1784>:
	s_addk_i32 s74, 0x1                                        // 000000009D98: B74A0001
	s_waitcnt lgkmcnt(8)                                       // 000000009D9C: BF8CC87F
	v_mfma_f32_16x16x32_f16 v[56:59], v[72:75], a[48:51], 0    // 000000009DA0: D3D40038 12026148
	v_exp_f32_e32 v24, v24                                     // 000000009DA8: 7E304118
	v_exp_f32_e32 v25, v25                                     // 000000009DAC: 7E324119
	v_mfma_f32_16x16x32_f16 v[56:59], v[76:79], a[52:55], v[56:59]// 000000009DB0: D3D40038 14E2694C
	v_exp_f32_e32 v26, v26                                     // 000000009DB8: 7E34411A
	v_exp_f32_e32 v27, v27                                     // 000000009DBC: 7E36411B
	v_mfma_f32_16x16x32_f16 v[56:59], v[80:83], a[56:59], v[56:59]// 000000009DC0: D3D40038 14E27150
	v_fma_f32 v36, v36, s57, -v104                             // 000000009DC8: D1CB0024 85A07324
	v_fma_f32 v37, v37, s57, -v105                             // 000000009DD0: D1CB0025 85A47325
	v_exp_f32_e32 v28, v28                                     // 000000009DD8: 7E38411C
	v_exp_f32_e32 v29, v29                                     // 000000009DDC: 7E3A411D
	v_mfma_f32_16x16x32_f16 v[56:59], v[84:87], a[60:63], v[56:59]// 000000009DE0: D3D40038 14E27954
	ds_read_b64_tr_b16 a[112:113], v10 offset:4096             // 000000009DE8: DBC61000 7000000A
	ds_read_b64_tr_b16 a[114:115], v10 offset:4352             // 000000009DF0: DBC61100 7200000A
	v_mfma_f32_16x16x32_f16 v[60:63], v[72:75], a[64:67], 0    // 000000009DF8: D3D4003C 12028148
	v_fma_f32 v38, v38, s57, -v106                             // 000000009E00: D1CB0026 85A87326
	v_fma_f32 v39, v39, s57, -v107                             // 000000009E08: D1CB0027 85AC7327
	v_exp_f32_e32 v30, v30                                     // 000000009E10: 7E3C411E
	v_exp_f32_e32 v31, v31                                     // 000000009E14: 7E3E411F
	v_mfma_f32_16x16x32_f16 v[60:63], v[76:79], a[68:71], v[60:63]// 000000009E18: D3D4003C 14F2894C
	ds_read_b64_tr_b16 a[116:117], v10 offset:5120             // 000000009E20: DBC61400 7400000A
	ds_read_b64_tr_b16 a[118:119], v10 offset:5376             // 000000009E28: DBC61500 7600000A
	v_mfma_f32_16x16x32_f16 v[60:63], v[80:83], a[72:75], v[60:63]// 000000009E30: D3D4003C 14F29150
	v_exp_f32_e32 v32, v32                                     // 000000009E38: 7E404120
	v_exp_f32_e32 v33, v33                                     // 000000009E3C: 7E424121
	v_mfma_f32_16x16x32_f16 v[60:63], v[84:87], a[76:79], v[60:63]// 000000009E40: D3D4003C 14F29954
	v_cvt_pk_f16_f32 v116, v24, v25                            // 000000009E48: D2670074 00023318
	v_cvt_pk_f16_f32 v117, v26, v27                            // 000000009E50: D2670075 0002371A
	v_exp_f32_e32 v34, v34                                     // 000000009E58: 7E444122
	v_mfma_f32_16x16x32_f16 v[64:67], v[72:75], a[80:83], 0    // 000000009E5C: D3D40040 1202A148
	v_exp_f32_e32 v35, v35                                     // 000000009E64: 7E464123
	v_exp_f32_e32 v36, v36                                     // 000000009E68: 7E484124
	v_mfma_f32_16x16x32_f16 v[64:67], v[76:79], a[84:87], v[64:67]// 000000009E6C: D3D40040 1502A94C
	v_cvt_pk_f16_f32 v118, v28, v29                            // 000000009E74: D2670076 00023B1C
	v_cvt_pk_f16_f32 v119, v30, v31                            // 000000009E7C: D2670077 00023F1E
	v_exp_f32_e32 v37, v37                                     // 000000009E84: 7E4A4125
	v_mfma_f32_16x16x32_f16 v[64:67], v[80:83], a[88:91], v[64:67]// 000000009E88: D3D40040 1502B150
	v_exp_f32_e32 v38, v38                                     // 000000009E90: 7E4C4126
	v_exp_f32_e32 v39, v39                                     // 000000009E94: 7E4E4127
	v_permlane16_swap_b32_e32 v116, v118                       // 000000009E98: 7EE8B376
	v_mfma_f32_16x16x32_f16 v[64:67], v[84:87], a[92:95], v[64:67]// 000000009E9C: D3D40040 1502B954
	ds_read_b64_tr_b16 a[120:121], v10 offset:6144             // 000000009EA4: DBC61800 7800000A
	ds_read_b64_tr_b16 a[122:123], v10 offset:6400             // 000000009EAC: DBC61900 7A00000A
	v_mfma_f32_16x16x32_f16 v[68:71], v[72:75], a[96:99], 0    // 000000009EB4: D3D40044 1202C148
	v_cvt_pk_f16_f32 v120, v32, v33                            // 000000009EBC: D2670078 00024320
	v_cvt_pk_f16_f32 v121, v34, v35                            // 000000009EC4: D2670079 00024722
	v_cvt_pk_f16_f32 v122, v36, v37                            // 000000009ECC: D267007A 00024B24
	v_cvt_pk_f16_f32 v123, v38, v39                            // 000000009ED4: D267007B 00024F26
	v_permlane16_swap_b32_e32 v117, v119                       // 000000009EDC: 7EEAB377
	v_mfma_f32_16x16x32_f16 v[68:71], v[76:79], a[100:103], v[68:71]// 000000009EE0: D3D40044 1512C94C
	ds_read_b64_tr_b16 a[124:125], v10 offset:7168             // 000000009EE8: DBC61C00 7C00000A
	ds_read_b64_tr_b16 a[126:127], v10 offset:7424             // 000000009EF0: DBC61D00 7E00000A
	v_mfma_f32_16x16x32_f16 v[68:71], v[80:83], a[104:107], v[68:71]// 000000009EF8: D3D40044 1512D150
	v_permlane16_swap_b32_e32 v120, v122                       // 000000009F00: 7EF0B37A
	v_mfma_f32_16x16x32_f16 v[68:71], v[84:87], a[108:111], v[68:71]// 000000009F04: D3D40044 1512D954
	v_permlane16_swap_b32_e32 v121, v123                       // 000000009F0C: 7EF2B37B
	s_waitcnt lgkmcnt(8)                                       // 000000009F10: BF8CC87F
	v_mfma_f32_32x32x16_f16 v[126:141], v[88:91], v[116:119], v[126:141]// 000000009F14: D3D5007E 05FAE958
	v_subrev_f32_dpp v56, v124, v56 quad_perm:[0,0,0,0] row_mask:0xf bank_mask:0xf// 000000009F1C: 067070FA FF00007C
	v_subrev_f32_dpp v57, v124, v57 quad_perm:[1,1,1,1] row_mask:0xf bank_mask:0xf// 000000009F24: 067272FA FF00557C
	v_subrev_f32_dpp v58, v124, v58 quad_perm:[2,2,2,2] row_mask:0xf bank_mask:0xf// 000000009F2C: 067474FA FF00AA7C
	v_subrev_f32_dpp v59, v124, v59 quad_perm:[3,3,3,3] row_mask:0xf bank_mask:0xf// 000000009F34: 067676FA FF00FF7C
	v_subrev_f32_dpp v60, v124, v60 quad_perm:[0,0,0,0] row_mask:0xf bank_mask:0xf// 000000009F3C: 067878FA FF00007C
	v_subrev_f32_dpp v61, v124, v61 quad_perm:[1,1,1,1] row_mask:0xf bank_mask:0xf// 000000009F44: 067A7AFA FF00557C
	v_subrev_f32_dpp v62, v124, v62 quad_perm:[2,2,2,2] row_mask:0xf bank_mask:0xf// 000000009F4C: 067C7CFA FF00AA7C
	v_subrev_f32_dpp v63, v124, v63 quad_perm:[3,3,3,3] row_mask:0xf bank_mask:0xf// 000000009F54: 067E7EFA FF00FF7C
	v_mul_f32_e32 v56, v24, v56                                // 000000009F5C: 0A707118
	v_mul_f32_e32 v57, v25, v57                                // 000000009F60: 0A727319
	v_mfma_f32_32x32x16_f16 v[142:157], v[92:95], v[116:119], v[142:157]// 000000009F64: D3D5008E 063AE95C
	ds_read_b64_tr_b16 a[0:1], v15                             // 000000009F6C: DBC60000 0000000F
	ds_read_b64_tr_b16 a[2:3], v15 offset:256                  // 000000009F74: DBC60100 0200000F
	ds_read_b64_tr_b16 a[4:5], v16                             // 000000009F7C: DBC60000 04000010
	ds_read_b64_tr_b16 a[6:7], v16 offset:256                  // 000000009F84: DBC60100 06000010
	buffer_atomic_pk_add_f16 v108, v4, s[32:35], 0 offen       // 000000009F8C: E1381000 80086C04
	v_mfma_f32_32x32x16_f16 v[158:173], v[96:99], v[116:119], v[158:173]// 000000009F94: D3D5009E 067AE960
	v_mul_f32_e32 v58, v26, v58                                // 000000009F9C: 0A74751A
	v_mul_f32_e32 v59, v27, v59                                // 000000009FA0: 0A76771B
	v_mul_f32_e32 v60, v28, v60                                // 000000009FA4: 0A78791C
	v_mul_f32_e32 v61, v29, v61                                // 000000009FA8: 0A7A7B1D
	v_mul_f32_e32 v62, v30, v62                                // 000000009FAC: 0A7C7D1E
	v_mul_f32_e32 v63, v31, v63                                // 000000009FB0: 0A7E7F1F
	v_cvt_pk_f16_f32 v56, v56, v57                             // 000000009FB4: D2670038 00027338
	v_cvt_pk_f16_f32 v57, v58, v59                             // 000000009FBC: D2670039 0002773A
	v_cvt_pk_f16_f32 v58, v60, v61                             // 000000009FC4: D267003A 00027B3C
	v_cvt_pk_f16_f32 v59, v62, v63                             // 000000009FCC: D267003B 00027F3E
	v_subrev_f32_dpp v64, v124, v64 quad_perm:[0,0,0,0] row_mask:0xf bank_mask:0xf// 000000009FD4: 068080FA FF00007C
	v_subrev_f32_dpp v65, v124, v65 quad_perm:[1,1,1,1] row_mask:0xf bank_mask:0xf// 000000009FDC: 068282FA FF00557C
	v_subrev_f32_dpp v66, v124, v66 quad_perm:[2,2,2,2] row_mask:0xf bank_mask:0xf// 000000009FE4: 068484FA FF00AA7C
	v_subrev_f32_dpp v67, v124, v67 quad_perm:[3,3,3,3] row_mask:0xf bank_mask:0xf// 000000009FEC: 068686FA FF00FF7C
	v_mfma_f32_32x32x16_f16 v[174:189], v[100:103], v[116:119], v[174:189]// 000000009FF4: D3D500AE 06BAE964
	ds_read_b64_tr_b16 a[8:9], v15 offset:8192                 // 000000009FFC: DBC62000 0800000F
	ds_read_b64_tr_b16 a[10:11], v15 offset:8448               // 00000000A004: DBC62100 0A00000F
	ds_read_b64_tr_b16 a[12:13], v16 offset:8192               // 00000000A00C: DBC62000 0C000010
	ds_read_b64_tr_b16 a[14:15], v16 offset:8448               // 00000000A014: DBC62100 0E000010
	v_mfma_f32_32x32x16_f16 v[190:205], v[88:91], v[120:123], v[190:205]// 00000000A01C: D3D500BE 06FAF158
	v_subrev_f32_dpp v68, v124, v68 quad_perm:[0,0,0,0] row_mask:0xf bank_mask:0xf// 00000000A024: 068888FA FF00007C
	v_subrev_f32_dpp v69, v124, v69 quad_perm:[1,1,1,1] row_mask:0xf bank_mask:0xf// 00000000A02C: 068A8AFA FF00557C
	v_subrev_f32_dpp v70, v124, v70 quad_perm:[2,2,2,2] row_mask:0xf bank_mask:0xf// 00000000A034: 068C8CFA FF00AA7C
	v_subrev_f32_dpp v71, v124, v71 quad_perm:[3,3,3,3] row_mask:0xf bank_mask:0xf// 00000000A03C: 068E8EFA FF00FF7C
	v_mul_f32_e32 v64, v32, v64                                // 00000000A044: 0A808120
	v_mul_f32_e32 v65, v33, v65                                // 00000000A048: 0A828321
	v_mul_f32_e32 v66, v34, v66                                // 00000000A04C: 0A848522
	v_mul_f32_e32 v67, v35, v67                                // 00000000A050: 0A868723
	v_mul_f32_e32 v68, v36, v68                                // 00000000A054: 0A888924
	v_mul_f32_e32 v69, v37, v69                                // 00000000A058: 0A8A8B25
	v_mul_f32_e32 v70, v38, v70                                // 00000000A05C: 0A8C8D26
	v_mul_f32_e32 v71, v39, v71                                // 00000000A060: 0A8E8F27
	v_cvt_pk_f16_f32 v60, v64, v65                             // 00000000A064: D267003C 00028340
	v_cvt_pk_f16_f32 v61, v66, v67                             // 00000000A06C: D267003D 00028742
	v_cvt_pk_f16_f32 v62, v68, v69                             // 00000000A074: D267003E 00028B44
	v_cvt_pk_f16_f32 v63, v70, v71                             // 00000000A07C: D267003F 00028F46
	v_mfma_f32_32x32x16_f16 v[206:221], v[92:95], v[120:123], v[206:221]// 00000000A084: D3D500CE 073AF15C
	ds_read_b64_tr_b16 a[16:17], v15 offset:16384              // 00000000A08C: DBC64000 1000000F
	ds_read_b64_tr_b16 a[18:19], v15 offset:16640              // 00000000A094: DBC64100 1200000F
	ds_write_b64 v12, v[56:57] offset:32768                    // 00000000A09C: D89A8000 0000380C
	ds_write_b64 v12, v[58:59] offset:35072                    // 00000000A0A4: D89A8900 00003A0C
	buffer_atomic_pk_add_f16 v109, v5, s[32:35], 0 offen       // 00000000A0AC: E1381000 80086D05
	v_mfma_f32_32x32x16_f16 v[222:237], v[96:99], v[120:123], v[222:237]// 00000000A0B4: D3D500DE 077AF160
	v_permlane16_swap_b32_e32 v56, v58                         // 00000000A0BC: 7E70B33A
	v_permlane16_swap_b32_e32 v57, v59                         // 00000000A0C0: 7E72B33B
	s_nop 1                                                    // 00000000A0C4: BF800001
	v_mfma_f32_32x32x16_f16 v[238:253], v[100:103], v[120:123], v[238:253]// 00000000A0C8: D3D500EE 07BAF164
	ds_read_b32 v104, v13 offset:43008                         // 00000000A0D0: D86CA800 6800000D
	ds_read_b32 v124, v13 offset:43264                         // 00000000A0D8: D86CA900 7C00000D
	ds_write_b64 v12, v[60:61] offset:37376                    // 00000000A0E0: D89A9200 00003C0C
	ds_write_b64 v12, v[62:63] offset:39680                    // 00000000A0E8: D89A9B00 00003E0C
	s_waitcnt lgkmcnt(12)                                      // 00000000A0F0: BF8CCC7F
	v_mfma_f32_32x32x16_f16 a[128:143], a[112:115], v[56:59], a[128:143]// 00000000A0F4: D3D58080 0E027170
	v_permlane16_swap_b32_e32 v60, v62                         // 00000000A0FC: 7E78B33E
	buffer_atomic_pk_add_f16 v110, v6, s[32:35], 0 offen       // 00000000A100: E1381000 80086E06
	v_mfma_f32_32x32x16_f16 a[144:159], a[116:119], v[56:59], a[144:159]// 00000000A108: D3D58090 0E427174
	ds_read_b64_tr_b16 a[20:21], v16 offset:16384              // 00000000A110: DBC64000 14000010
	ds_read_b64_tr_b16 a[22:23], v16 offset:16640              // 00000000A118: DBC64100 16000010
	ds_read_b64_tr_b16 a[24:25], v15 offset:24576              // 00000000A120: DBC66000 1800000F
	ds_read_b64_tr_b16 a[26:27], v15 offset:24832              // 00000000A128: DBC66100 1A00000F
	ds_read_b64_tr_b16 a[28:29], v16 offset:24576              // 00000000A130: DBC66000 1C000010
	ds_read_b64_tr_b16 a[30:31], v16 offset:24832              // 00000000A138: DBC66100 1E000010
	ds_read_b64_tr_b16 a[32:33], v15 offset:32768              // 00000000A140: DBC68000 2000000F
	ds_read_b64_tr_b16 a[34:35], v15 offset:33024              // 00000000A148: DBC68100 2200000F
	s_waitcnt lgkmcnt(8)                                       // 00000000A150: BF8CC87F
	s_barrier                                                  // 00000000A154: BF8A0000
	v_mfma_f32_32x32x16_f16 a[160:175], a[120:123], v[56:59], a[160:175]// 00000000A158: D3D580A0 0E827178
	v_permlane16_swap_b32_e32 v61, v63                         // 00000000A160: 7E7AB33F
	v_mul_f32_e32 v104, s48, v104                              // 00000000A164: 0AD0D030
	v_mfma_f32_32x32x16_f16 a[176:191], a[124:127], v[56:59], a[176:191]// 00000000A168: D3D580B0 0EC2717C
	ds_read_b64_tr_b16 v[24:25], v11 offset:32768              // 00000000A170: D9C68000 1800000B
	ds_read_b64_tr_b16 v[26:27], v11 offset:32800              // 00000000A178: D9C68020 1A00000B
	ds_read_b64_tr_b16 v[28:29], v11 offset:33920              // 00000000A180: D9C68480 1C00000B
	ds_read_b64_tr_b16 v[30:31], v11 offset:33952              // 00000000A188: D9C684A0 1E00000B
	ds_read_b64_tr_b16 v[32:33], v11 offset:35072              // 00000000A190: D9C68900 2000000B
	ds_read_b64_tr_b16 v[34:35], v11 offset:35104              // 00000000A198: D9C68920 2200000B
	ds_read_b64_tr_b16 v[36:37], v11 offset:36224              // 00000000A1A0: D9C68D80 2400000B
	ds_read_b64_tr_b16 v[38:39], v11 offset:36256              // 00000000A1A8: D9C68DA0 2600000B
	v_mfma_f32_32x32x16_f16 a[192:207], a[112:115], v[60:63], a[192:207]// 00000000A1B0: D3D580C0 0F027970
	v_mov_b32_dpp v107, v104 quad_perm:[3,3,3,3] row_mask:0xf bank_mask:0xf// 00000000A1B8: 7ED602FA FF00FF68
	v_mov_b32_dpp v106, v104 quad_perm:[2,2,2,2] row_mask:0xf bank_mask:0xf// 00000000A1C0: 7ED402FA FF00AA68
	buffer_atomic_pk_add_f16 v111, v7, s[32:35], 0 offen       // 00000000A1C8: E1381000 80086F07
	v_mfma_f32_32x32x16_f16 a[208:223], a[116:119], v[60:63], a[208:223]// 00000000A1D0: D3D580D0 0F427974
	ds_read_b64_tr_b16 v[40:41], v11 offset:37376              // 00000000A1D8: D9C69200 2800000B
	ds_read_b64_tr_b16 v[42:43], v11 offset:37408              // 00000000A1E0: D9C69220 2A00000B
	ds_read_b64_tr_b16 v[44:45], v11 offset:38528              // 00000000A1E8: D9C69680 2C00000B
	ds_read_b64_tr_b16 v[46:47], v11 offset:38560              // 00000000A1F0: D9C696A0 2E00000B
	ds_read_b64_tr_b16 a[36:37], v16 offset:32768              // 00000000A1F8: DBC68000 24000010
	ds_read_b64_tr_b16 a[38:39], v16 offset:33024              // 00000000A200: DBC68100 26000010
	ds_read_b64_tr_b16 a[40:41], v15 offset:40960              // 00000000A208: DBC6A000 2800000F
	ds_read_b64_tr_b16 a[42:43], v15 offset:41216              // 00000000A210: DBC6A100 2A00000F
	v_mfma_f32_32x32x16_f16 a[224:239], a[120:123], v[60:63], a[224:239]// 00000000A218: D3D580E0 0F827978
	v_mov_b32_dpp v105, v104 quad_perm:[1,1,1,1] row_mask:0xf bank_mask:0xf// 00000000A220: 7ED202FA FF005568
	v_mov_b32_dpp v104, v104 quad_perm:[0,0,0,0] row_mask:0xf bank_mask:0xf// 00000000A228: 7ED002FA FF000068
	v_mfma_f32_32x32x16_f16 a[240:255], a[124:127], v[60:63], a[240:255]// 00000000A230: D3D580F0 0FC2797C
	ds_read_b64_tr_b16 v[48:49], v11 offset:39680              // 00000000A238: D9C69B00 3000000B
	ds_read_b64_tr_b16 v[50:51], v11 offset:39712              // 00000000A240: D9C69B20 3200000B
	ds_read_b64_tr_b16 v[52:53], v11 offset:40832              // 00000000A248: D9C69F80 3400000B
	ds_read_b64_tr_b16 v[54:55], v11 offset:40864              // 00000000A250: D9C69FA0 3600000B
	ds_read_b64_tr_b16 a[44:45], v16 offset:40960              // 00000000A258: DBC6A000 2C000010
	ds_read_b64_tr_b16 a[46:47], v16 offset:41216              // 00000000A260: DBC6A100 2E000010
	s_waitcnt vmcnt(4) lgkmcnt(6)                              // 00000000A268: BF8C0674
	s_barrier                                                  // 00000000A26C: BF8A0000
	v_mfma_f32_16x16x32_f16 v[108:111], a[0:3], v[24:27], 0    // 00000000A270: D3D4006C 0A023100
	s_mov_b32 m0, s82                                          // 00000000A278: BEFC0052
	buffer_load_dwordx4 v1, s[8:11], 0 idxen lds               // 00000000A27C: E05D2000 80020001
	v_mfma_f32_16x16x32_f16 v[108:111], a[8:11], v[28:31], v[108:111]// 00000000A284: D3D4006C 0DB23908
	ds_read_b64_tr_b16 v[56:57], v15 offset:49152              // 00000000A28C: D9C6C000 3800000F
	ds_read_b64_tr_b16 v[58:59], v15 offset:49408              // 00000000A294: D9C6C100 3A00000F
	ds_read_b64_tr_b16 v[60:61], v16 offset:49152              // 00000000A29C: D9C6C000 3C000010
	ds_read_b64_tr_b16 v[62:63], v16 offset:49408              // 00000000A2A4: D9C6C100 3E000010
	v_mfma_f32_16x16x32_f16 v[108:111], a[16:19], v[32:35], v[108:111]// 00000000A2AC: D3D4006C 0DB24110
	s_mov_b32 m0, s86                                          // 00000000A2B4: BEFC0056
	buffer_load_dwordx4 v254, s[20:23], 0 idxen lds            // 00000000A2B8: E05D2000 800500FE
	v_mfma_f32_16x16x32_f16 v[108:111], a[24:27], v[36:39], v[108:111]// 00000000A2C0: D3D4006C 0DB24918
	ds_read_b64_tr_b16 v[64:65], v15 offset:57344              // 00000000A2C8: D9C6E000 4000000F
	ds_read_b64_tr_b16 v[66:67], v15 offset:57600              // 00000000A2D0: D9C6E100 4200000F
	ds_read_b64_tr_b16 v[68:69], v16 offset:57344              // 00000000A2D8: D9C6E000 44000010
	ds_read_b64_tr_b16 v[70:71], v16 offset:57600              // 00000000A2E0: D9C6E100 46000010
	v_mfma_f32_16x16x32_f16 v[108:111], a[32:35], v[40:43], v[108:111]// 00000000A2E8: D3D4006C 0DB25120
	s_mov_b32 m0, s78                                          // 00000000A2F0: BEFC004E
	buffer_load_dword v8, s[24:27], 0 idxen lds                // 00000000A2F4: E0512000 80060008
	v_mfma_f32_16x16x32_f16 v[108:111], a[40:43], v[44:47], v[108:111]// 00000000A2FC: D3D4006C 0DB25928
	ds_read_b128 a[112:115], v9 offset:8192                    // 00000000A304: DBFE2000 70000009
	ds_read_b128 a[116:119], v9 offset:9216                    // 00000000A30C: DBFE2400 74000009
	s_waitcnt lgkmcnt(4)                                       // 00000000A314: BF8CC47F
	s_barrier                                                  // 00000000A318: BF8A0000
	v_mfma_f32_16x16x32_f16 v[108:111], v[56:59], v[48:51], v[108:111]// 00000000A31C: D3D4006C 05B26138
	s_add_u32 s60, 64, s59                                     // 00000000A324: 803C3BC0
	s_cmp_lt_u32 s60, s58                                      // 00000000A328: BF0A3A3C
	s_cselect_b32 s68, s68, 0                                  // 00000000A32C: 85448044
	s_cselect_b32 s98, s98, 0                                  // 00000000A330: 85628062
	s_cselect_b32 s69, s69, 0                                  // 00000000A334: 85458045
	v_mfma_f32_16x16x32_f16 v[108:111], v[64:67], v[52:55], v[108:111]// 00000000A338: D3D4006C 05B26940
	ds_read_b128 a[120:123], v9 offset:10240                   // 00000000A340: DBFE2800 78000009
	ds_read_b128 a[124:127], v9 offset:11264                   // 00000000A348: DBFE2C00 7C000009
	v_mfma_f32_16x16x32_f16 v[112:115], a[4:7], v[24:27], 0    // 00000000A350: D3D40070 0A023104
	v_add_u32_e32 v1, s68, v1                                  // 00000000A358: 68020244
	v_add_u32_e32 v254, s98, v254                              // 00000000A35C: 69FDFC62
	v_add_u32_e32 v8, s69, v8                                  // 00000000A360: 68101045
	v_mfma_f32_16x16x32_f16 v[112:115], a[12:15], v[28:31], v[112:115]// 00000000A364: D3D40070 0DC2390C
	ds_read_b128 a[0:3], v14                                   // 00000000A36C: DBFE0000 0000000E
	ds_read_b128 a[4:7], v14 offset:1024                       // 00000000A374: DBFE0400 0400000E
	v_mfma_f32_16x16x32_f16 v[112:115], a[20:23], v[32:35], v[112:115]// 00000000A37C: D3D40070 0DC24114
	v_mul_f32_e32 v108, s47, v108                              // 00000000A384: 0AD8D82F
	v_mul_f32_e32 v109, s47, v109                              // 00000000A388: 0ADADA2F
	v_mfma_f32_16x16x32_f16 v[112:115], a[28:31], v[36:39], v[112:115]// 00000000A38C: D3D40070 0DC2491C
	ds_read_b128 a[8:11], v14 offset:2048                      // 00000000A394: DBFE0800 0800000E
	ds_read_b128 a[12:15], v14 offset:3072                     // 00000000A39C: DBFE0C00 0C00000E
	v_mfma_f32_16x16x32_f16 v[112:115], a[36:39], v[40:43], v[112:115]// 00000000A3A4: D3D40070 0DC25124
	v_mul_f32_e32 v110, s47, v110                              // 00000000A3AC: 0ADCDC2F
	s_cmp_ge_u32 s59, s73                                      // 00000000A3B0: BF09493B
	s_cselect_b32 s66, s67, s66                                // 00000000A3B4: 85424243
	v_mfma_f32_16x16x32_f16 v[112:115], a[44:47], v[44:47], v[112:115]// 00000000A3B8: D3D40070 0DC2592C
	ds_read_b128 a[16:19], v14 offset:16384                    // 00000000A3C0: DBFE4000 1000000E
	ds_read_b128 a[20:23], v14 offset:17408                    // 00000000A3C8: DBFE4400 1400000E
	s_waitcnt lgkmcnt(10)                                      // 00000000A3D0: BF8CCA7F
	v_mfma_f32_16x16x32_f16 v[112:115], v[60:63], v[48:51], v[112:115]// 00000000A3D4: D3D40070 05C2613C
	s_addk_i32 s59, 0x10                                       // 00000000A3DC: B73B0010
	v_mul_f32_e32 v111, s47, v111                              // 00000000A3E0: 0ADEDE2F
	s_cmp_lt_i32 s59, s58                                      // 00000000A3E4: BF043A3B
	v_mfma_f32_16x16x32_f16 v[112:115], v[68:71], v[52:55], v[112:115]// 00000000A3E8: D3D40070 05C26944
	ds_read_b128 a[24:27], v14 offset:18432                    // 00000000A3F0: DBFE4800 1800000E
	ds_read_b128 a[28:31], v14 offset:19456                    // 00000000A3F8: DBFE4C00 1C00000E
	s_cbranch_scc0 label_12E0                                  // 00000000A400: BF84F9CB
	s_waitcnt lgkmcnt(2)                                       // 00000000A404: BF8CC27F
	v_mfma_f32_16x16x32_f16 v[24:27], a[112:115], a[0:3], 0    // 00000000A408: D3D40018 1A020170
	v_add_u32_e32 v4, s66, v4                                  // 00000000A410: 68080842
	v_add_u32_e32 v5, s66, v5                                  // 00000000A414: 680A0A42
	v_add_u32_e32 v6, s66, v6                                  // 00000000A418: 680C0C42
	v_add_u32_e32 v7, s66, v7                                  // 00000000A41C: 680E0E42
	v_mfma_f32_16x16x32_f16 v[24:27], a[116:119], a[4:7], v[24:27]// 00000000A420: D3D40018 1C620974
	ds_read_b128 a[32:35], v14 offset:32768                    // 00000000A428: DBFE8000 2000000E
	ds_read_b128 a[36:39], v14 offset:33792                    // 00000000A430: DBFE8400 2400000E
	v_mfma_f32_16x16x32_f16 v[24:27], a[120:123], a[8:11], v[24:27]// 00000000A438: D3D40018 1C621178
	v_mul_f32_e32 v112, s47, v112                              // 00000000A440: 0AE0E02F
	v_mul_f32_e32 v113, s47, v113                              // 00000000A444: 0AE2E22F
	v_mfma_f32_16x16x32_f16 v[24:27], a[124:127], a[12:15], v[24:27]// 00000000A448: D3D40018 1C62197C
	ds_read_b128 a[40:43], v14 offset:34816                    // 00000000A450: DBFE8800 2800000E
	ds_read_b128 a[44:47], v14 offset:35840                    // 00000000A458: DBFE8C00 2C00000E
	v_mfma_f32_16x16x32_f16 v[28:31], a[112:115], a[16:19], 0  // 00000000A460: D3D4001C 1A022170
	v_mul_f32_e32 v114, s47, v114                              // 00000000A468: 0AE4E42F
	v_mul_f32_e32 v115, s47, v115                              // 00000000A46C: 0AE6E62F
	v_mfma_f32_16x16x32_f16 v[28:31], a[116:119], a[20:23], v[28:31]// 00000000A470: D3D4001C 1C722974
	ds_read_b128 v[56:59], v14 offset:49152                    // 00000000A478: D9FEC000 3800000E
	ds_read_b128 v[60:63], v14 offset:50176                    // 00000000A480: D9FEC400 3C00000E
	s_waitcnt lgkmcnt(6)                                       // 00000000A488: BF8CC67F
	v_mfma_f32_16x16x32_f16 v[28:31], a[120:123], a[24:27], v[28:31]// 00000000A48C: D3D4001C 1C723178
	v_fma_f32 v24, v24, s57, -v104                             // 00000000A494: D1CB0018 85A07318
	v_fma_f32 v25, v25, s57, -v105                             // 00000000A49C: D1CB0019 85A47319
	v_mfma_f32_16x16x32_f16 v[28:31], a[124:127], a[28:31], v[28:31]// 00000000A4A4: D3D4001C 1C72397C
	ds_read_b128 v[64:67], v14 offset:51200                    // 00000000A4AC: D9FEC800 4000000E
	ds_read_b128 v[68:71], v14 offset:52224                    // 00000000A4B4: D9FECC00 4400000E
	s_waitcnt lgkmcnt(6)                                       // 00000000A4BC: BF8CC67F
	v_mfma_f32_16x16x32_f16 v[32:35], a[112:115], a[32:35], 0  // 00000000A4C0: D3D40020 1A024170
	v_fma_f32 v26, v26, s57, -v106                             // 00000000A4C8: D1CB001A 85A8731A
	v_fma_f32 v27, v27, s57, -v107                             // 00000000A4D0: D1CB001B 85AC731B
	v_cvt_pk_f16_f32 v108, v108, v109                          // 00000000A4D8: D267006C 0002DB6C
	v_cvt_pk_f16_f32 v109, v110, v111                          // 00000000A4E0: D267006D 0002DF6E
	v_mfma_f32_16x16x32_f16 v[32:35], a[116:119], a[36:39], v[32:35]// 00000000A4E8: D3D40020 1C824974
	ds_read_b128 v[72:75], v9 offset:24576                     // 00000000A4F0: D9FE6000 48000009
	ds_read_b128 v[76:79], v9 offset:25600                     // 00000000A4F8: D9FE6400 4C000009
	s_waitcnt lgkmcnt(6)                                       // 00000000A500: BF8CC67F
	v_mfma_f32_16x16x32_f16 v[32:35], a[120:123], a[40:43], v[32:35]// 00000000A504: D3D40020 1C825178
	v_fma_f32 v28, v28, s57, -v104                             // 00000000A50C: D1CB001C 85A0731C
	v_fma_f32 v29, v29, s57, -v105                             // 00000000A514: D1CB001D 85A4731D
	v_cvt_pk_f16_f32 v110, v112, v113                          // 00000000A51C: D267006E 0002E370
	v_cvt_pk_f16_f32 v111, v114, v115                          // 00000000A524: D267006F 0002E772
	v_mfma_f32_16x16x32_f16 v[32:35], a[124:127], a[44:47], v[32:35]// 00000000A52C: D3D40020 1C82597C
	ds_read_b128 v[80:83], v9 offset:26624                     // 00000000A534: D9FE6800 50000009
	ds_read_b128 v[84:87], v9 offset:27648                     // 00000000A53C: D9FE6C00 54000009
	s_waitcnt lgkmcnt(6)                                       // 00000000A544: BF8CC67F
	v_mfma_f32_16x16x32_f16 v[36:39], a[112:115], v[56:59], 0  // 00000000A548: D3D40024 0A027170
	v_fma_f32 v30, v30, s57, -v106                             // 00000000A550: D1CB001E 85A8731E
	v_fma_f32 v31, v31, s57, -v107                             // 00000000A558: D1CB001F 85AC731F
	v_mfma_f32_16x16x32_f16 v[36:39], a[116:119], v[60:63], v[36:39]// 00000000A560: D3D40024 0C927974
	ds_read_b64_tr_b16 v[88:89], v10 offset:24576              // 00000000A568: D9C66000 5800000A
	ds_read_b64_tr_b16 v[90:91], v10 offset:24832              // 00000000A570: D9C66100 5A00000A
	ds_read_b64_tr_b16 v[92:93], v10 offset:25600              // 00000000A578: D9C66400 5C00000A
	ds_read_b64_tr_b16 v[94:95], v10 offset:25856              // 00000000A580: D9C66500 5E00000A
	s_waitcnt lgkmcnt(8)                                       // 00000000A588: BF8CC87F
	v_mfma_f32_16x16x32_f16 v[36:39], a[120:123], v[64:67], v[36:39]// 00000000A58C: D3D40024 0C928178
	v_fma_f32 v32, v32, s57, -v104                             // 00000000A594: D1CB0020 85A07320
	v_fma_f32 v33, v33, s57, -v105                             // 00000000A59C: D1CB0021 85A47321
	v_fma_f32 v34, v34, s57, -v106                             // 00000000A5A4: D1CB0022 85A87322
	v_fma_f32 v35, v35, s57, -v107                             // 00000000A5AC: D1CB0023 85AC7323
	v_mfma_f32_16x16x32_f16 v[36:39], a[124:127], v[68:71], v[36:39]// 00000000A5B4: D3D40024 0C92897C
	ds_read_b64_tr_b16 v[96:97], v10 offset:26624              // 00000000A5BC: D9C66800 6000000A
	ds_read_b64_tr_b16 v[98:99], v10 offset:26880              // 00000000A5C4: D9C66900 6200000A
	ds_read_b64_tr_b16 v[100:101], v10 offset:27648            // 00000000A5CC: D9C66C00 6400000A
	ds_read_b64_tr_b16 v[102:103], v10 offset:27904            // 00000000A5D4: D9C66D00 6600000A
	s_cmp_lt_i32 s74, 16                                       // 00000000A5DC: BF04904A
	s_cbranch_scc0 label_1A31                                  // 00000000A5E0: BF84009A
	s_mov_b32 s60, 0xffe0fffe                                  // 00000000A5E4: BEBC00FF FFE0FFFE
	s_mov_b32 s61, 0xe000fe00                                  // 00000000A5EC: BEBD00FF E000FE00
	s_nop 0                                                    // 00000000A5F4: BF800000
	s_add_u32 s62, 0, s46                                      // 00000000A5F8: 803E2E80
	s_cmp_lt_i32 s74, s62                                      // 00000000A5FC: BF043E4A
	s_cbranch_scc1 label_19CC                                  // 00000000A600: BF85002D
	s_cmp_eq_i32 s74, s62                                      // 00000000A604: BF003E4A
	s_cbranch_scc1 label_19B1                                  // 00000000A608: BF850010
	s_add_u32 s62, 4, s46                                      // 00000000A60C: 803E2E84
	s_cmp_lt_i32 s74, s62                                      // 00000000A610: BF043E4A
	s_cbranch_scc1 label_19EC                                  // 00000000A614: BF850048
	s_cmp_eq_i32 s74, s62                                      // 00000000A618: BF003E4A
	s_cbranch_scc1 label_19D1                                  // 00000000A61C: BF85002B
	s_add_u32 s62, 8, s46                                      // 00000000A620: 803E2E88
	s_cmp_lt_i32 s74, s62                                      // 00000000A624: BF043E4A
	s_cbranch_scc1 label_1A0C                                  // 00000000A628: BF850063
	s_cmp_eq_i32 s74, s62                                      // 00000000A62C: BF003E4A
	s_cbranch_scc1 label_19F1                                  // 00000000A630: BF850046
	s_add_u32 s62, 12, s46                                     // 00000000A634: 803E2E8C
	s_cmp_lt_i32 s74, s62                                      // 00000000A638: BF043E4A
	s_cbranch_scc1 label_1A2C                                  // 00000000A63C: BF85007E
	s_cmp_eq_i32 s74, s62                                      // 00000000A640: BF003E4A
	s_cbranch_scc1 label_1A11                                  // 00000000A644: BF850061
	s_branch label_1A31                                        // 00000000A648: BF820080

000000000000a64c <label_19B1>:
	v_cndmask_b32_e64 v24, v24, v125, s[60:61]                 // 00000000A64C: D1000018 00F2FB18
	s_lshl_b32 s60, s60, 1                                     // 00000000A654: 8E3C813C
	s_lshl_b32 s61, s61, 1                                     // 00000000A658: 8E3D813D
	s_and_b32 s60, 0xfffeffff, s60                             // 00000000A65C: 863C3CFF FFFEFFFF
	s_and_b32 s61, 0xfffeffff, s61                             // 00000000A664: 863D3DFF FFFEFFFF
	v_cndmask_b32_e64 v25, v25, v125, s[60:61]                 // 00000000A66C: D1000019 00F2FB19
	s_lshl_b32 s60, s60, 1                                     // 00000000A674: 8E3C813C
	s_lshl_b32 s61, s61, 1                                     // 00000000A678: 8E3D813D
	s_and_b32 s60, 0xfffeffff, s60                             // 00000000A67C: 863C3CFF FFFEFFFF
	s_and_b32 s61, 0xfffeffff, s61                             // 00000000A684: 863D3DFF FFFEFFFF
	v_cndmask_b32_e64 v26, v26, v125, s[60:61]                 // 00000000A68C: D100001A 00F2FB1A
	s_lshl_b32 s60, s60, 1                                     // 00000000A694: 8E3C813C
	s_lshl_b32 s61, s61, 1                                     // 00000000A698: 8E3D813D
	s_and_b32 s60, 0xfffeffff, s60                             // 00000000A69C: 863C3CFF FFFEFFFF
	s_and_b32 s61, 0xfffeffff, s61                             // 00000000A6A4: 863D3DFF FFFEFFFF
	v_cndmask_b32_e64 v27, v27, v125, s[60:61]                 // 00000000A6AC: D100001B 00F2FB1B
	s_branch label_19EC                                        // 00000000A6B4: BF820020

000000000000a6b8 <label_19CC>:
	v_mov_b32_e32 v24, v125                                    // 00000000A6B8: 7E30037D
	v_mov_b32_e32 v25, v125                                    // 00000000A6BC: 7E32037D
	v_mov_b32_e32 v26, v125                                    // 00000000A6C0: 7E34037D
	v_mov_b32_e32 v27, v125                                    // 00000000A6C4: 7E36037D
	s_branch label_19EC                                        // 00000000A6C8: BF82001B

000000000000a6cc <label_19D1>:
	v_cndmask_b32_e64 v28, v28, v125, s[60:61]                 // 00000000A6CC: D100001C 00F2FB1C
	s_lshl_b32 s60, s60, 1                                     // 00000000A6D4: 8E3C813C
	s_lshl_b32 s61, s61, 1                                     // 00000000A6D8: 8E3D813D
	s_and_b32 s60, 0xfffeffff, s60                             // 00000000A6DC: 863C3CFF FFFEFFFF
	s_and_b32 s61, 0xfffeffff, s61                             // 00000000A6E4: 863D3DFF FFFEFFFF
	v_cndmask_b32_e64 v29, v29, v125, s[60:61]                 // 00000000A6EC: D100001D 00F2FB1D
	s_lshl_b32 s60, s60, 1                                     // 00000000A6F4: 8E3C813C
	s_lshl_b32 s61, s61, 1                                     // 00000000A6F8: 8E3D813D
	s_and_b32 s60, 0xfffeffff, s60                             // 00000000A6FC: 863C3CFF FFFEFFFF
	s_and_b32 s61, 0xfffeffff, s61                             // 00000000A704: 863D3DFF FFFEFFFF
	v_cndmask_b32_e64 v30, v30, v125, s[60:61]                 // 00000000A70C: D100001E 00F2FB1E
	s_lshl_b32 s60, s60, 1                                     // 00000000A714: 8E3C813C
	s_lshl_b32 s61, s61, 1                                     // 00000000A718: 8E3D813D
	s_and_b32 s60, 0xfffeffff, s60                             // 00000000A71C: 863C3CFF FFFEFFFF
	s_and_b32 s61, 0xfffeffff, s61                             // 00000000A724: 863D3DFF FFFEFFFF
	v_cndmask_b32_e64 v31, v31, v125, s[60:61]                 // 00000000A72C: D100001F 00F2FB1F
	s_branch label_1A0C                                        // 00000000A734: BF820020

000000000000a738 <label_19EC>:
	v_mov_b32_e32 v28, v125                                    // 00000000A738: 7E38037D
	v_mov_b32_e32 v29, v125                                    // 00000000A73C: 7E3A037D
	v_mov_b32_e32 v30, v125                                    // 00000000A740: 7E3C037D
	v_mov_b32_e32 v31, v125                                    // 00000000A744: 7E3E037D
	s_branch label_1A0C                                        // 00000000A748: BF82001B

000000000000a74c <label_19F1>:
	v_cndmask_b32_e64 v32, v32, v125, s[60:61]                 // 00000000A74C: D1000020 00F2FB20
	s_lshl_b32 s60, s60, 1                                     // 00000000A754: 8E3C813C
	s_lshl_b32 s61, s61, 1                                     // 00000000A758: 8E3D813D
	s_and_b32 s60, 0xfffeffff, s60                             // 00000000A75C: 863C3CFF FFFEFFFF
	s_and_b32 s61, 0xfffeffff, s61                             // 00000000A764: 863D3DFF FFFEFFFF
	v_cndmask_b32_e64 v33, v33, v125, s[60:61]                 // 00000000A76C: D1000021 00F2FB21
	s_lshl_b32 s60, s60, 1                                     // 00000000A774: 8E3C813C
	s_lshl_b32 s61, s61, 1                                     // 00000000A778: 8E3D813D
	s_and_b32 s60, 0xfffeffff, s60                             // 00000000A77C: 863C3CFF FFFEFFFF
	s_and_b32 s61, 0xfffeffff, s61                             // 00000000A784: 863D3DFF FFFEFFFF
	v_cndmask_b32_e64 v34, v34, v125, s[60:61]                 // 00000000A78C: D1000022 00F2FB22
	s_lshl_b32 s60, s60, 1                                     // 00000000A794: 8E3C813C
	s_lshl_b32 s61, s61, 1                                     // 00000000A798: 8E3D813D
	s_and_b32 s60, 0xfffeffff, s60                             // 00000000A79C: 863C3CFF FFFEFFFF
	s_and_b32 s61, 0xfffeffff, s61                             // 00000000A7A4: 863D3DFF FFFEFFFF
	v_cndmask_b32_e64 v35, v35, v125, s[60:61]                 // 00000000A7AC: D1000023 00F2FB23
	s_branch label_1A2C                                        // 00000000A7B4: BF820020

000000000000a7b8 <label_1A0C>:
	v_mov_b32_e32 v32, v125                                    // 00000000A7B8: 7E40037D
	v_mov_b32_e32 v33, v125                                    // 00000000A7BC: 7E42037D
	v_mov_b32_e32 v34, v125                                    // 00000000A7C0: 7E44037D
	v_mov_b32_e32 v35, v125                                    // 00000000A7C4: 7E46037D
	s_branch label_1A2C                                        // 00000000A7C8: BF82001B

000000000000a7cc <label_1A11>:
	v_cndmask_b32_e64 v36, v36, v125, s[60:61]                 // 00000000A7CC: D1000024 00F2FB24
	s_lshl_b32 s60, s60, 1                                     // 00000000A7D4: 8E3C813C
	s_lshl_b32 s61, s61, 1                                     // 00000000A7D8: 8E3D813D
	s_and_b32 s60, 0xfffeffff, s60                             // 00000000A7DC: 863C3CFF FFFEFFFF
	s_and_b32 s61, 0xfffeffff, s61                             // 00000000A7E4: 863D3DFF FFFEFFFF
	v_cndmask_b32_e64 v37, v37, v125, s[60:61]                 // 00000000A7EC: D1000025 00F2FB25
	s_lshl_b32 s60, s60, 1                                     // 00000000A7F4: 8E3C813C
	s_lshl_b32 s61, s61, 1                                     // 00000000A7F8: 8E3D813D
	s_and_b32 s60, 0xfffeffff, s60                             // 00000000A7FC: 863C3CFF FFFEFFFF
	s_and_b32 s61, 0xfffeffff, s61                             // 00000000A804: 863D3DFF FFFEFFFF
	v_cndmask_b32_e64 v38, v38, v125, s[60:61]                 // 00000000A80C: D1000026 00F2FB26
	s_lshl_b32 s60, s60, 1                                     // 00000000A814: 8E3C813C
	s_lshl_b32 s61, s61, 1                                     // 00000000A818: 8E3D813D
	s_and_b32 s60, 0xfffeffff, s60                             // 00000000A81C: 863C3CFF FFFEFFFF
	s_and_b32 s61, 0xfffeffff, s61                             // 00000000A824: 863D3DFF FFFEFFFF
	v_cndmask_b32_e64 v39, v39, v125, s[60:61]                 // 00000000A82C: D1000027 00F2FB27
	s_branch label_1A31                                        // 00000000A834: BF820005

000000000000a838 <label_1A2C>:
	v_mov_b32_e32 v36, v125                                    // 00000000A838: 7E48037D
	v_mov_b32_e32 v37, v125                                    // 00000000A83C: 7E4A037D
	v_mov_b32_e32 v38, v125                                    // 00000000A840: 7E4C037D
	v_mov_b32_e32 v39, v125                                    // 00000000A844: 7E4E037D
	s_branch label_1A31                                        // 00000000A848: BF820000

000000000000a84c <label_1A31>:
	s_cmp_lt_i32 s99, 0x100                                    // 00000000A84C: BF04FF63 00000100
	s_cbranch_scc0 label_1AA2                                  // 00000000A854: BF840069
	s_cmp_le_i32 s99, 64                                       // 00000000A858: BF05C063
	s_cbranch_scc1 label_1A40                                  // 00000000A85C: BF85000A
	s_cmp_le_i32 s99, 0x80                                     // 00000000A860: BF05FF63 00000080
	s_cbranch_scc1 label_1A58                                  // 00000000A868: BF85001A
	s_cmp_lt_i32 s99, 0xc0                                     // 00000000A86C: BF04FF63 000000C0
	s_cbranch_scc1 label_1A70                                  // 00000000A874: BF85002F
	s_cmp_lt_i32 s99, 0x100                                    // 00000000A878: BF04FF63 00000100
	s_cbranch_scc1 label_1A89                                  // 00000000A880: BF850045
	s_branch label_1AA2                                        // 00000000A884: BF82005D

000000000000a888 <label_1A40>:
	s_mov_b32 s60, 0                                           // 00000000A888: BEBC0080
	v_and_b32_e32 v20, 15, v0                                  // 00000000A88C: 2628008F
	v_add_u32_e64 v20, v20, s60                                // 00000000A890: D1340014 00007914
	v_mul_i32_i24_e64 v21, s46, 16                             // 00000000A898: D1060015 0001202E
	v_add_u32_e32 v20, v20, v21                                // 00000000A8A0: 68282B14
	v_cmp_lt_u32_e64 s[60:61], v20, s99                        // 00000000A8A4: D0C9003C 0000C714
	s_nop 1                                                    // 00000000A8AC: BF800001
	v_cndmask_b32_e64 v24, v125, v24, s[60:61]                 // 00000000A8B0: D1000018 00F2317D
	v_cndmask_b32_e64 v25, v125, v25, s[60:61]                 // 00000000A8B8: D1000019 00F2337D
	v_cndmask_b32_e64 v26, v125, v26, s[60:61]                 // 00000000A8C0: D100001A 00F2357D
	v_cndmask_b32_e64 v27, v125, v27, s[60:61]                 // 00000000A8C8: D100001B 00F2377D
	s_branch label_1A6B                                        // 00000000A8D0: BF820013

000000000000a8d4 <label_1A58>:
	s_mov_b32 s60, 64                                          // 00000000A8D4: BEBC00C0
	v_and_b32_e32 v20, 15, v0                                  // 00000000A8D8: 2628008F
	v_add_u32_e64 v20, v20, s60                                // 00000000A8DC: D1340014 00007914
	v_mul_i32_i24_e64 v21, s46, 16                             // 00000000A8E4: D1060015 0001202E
	v_add_u32_e32 v20, v20, v21                                // 00000000A8EC: 68282B14
	v_cmp_lt_u32_e64 s[60:61], v20, s99                        // 00000000A8F0: D0C9003C 0000C714
	s_nop 1                                                    // 00000000A8F8: BF800001
	v_cndmask_b32_e64 v28, v125, v28, s[60:61]                 // 00000000A8FC: D100001C 00F2397D
	v_cndmask_b32_e64 v29, v125, v29, s[60:61]                 // 00000000A904: D100001D 00F23B7D
	v_cndmask_b32_e64 v30, v125, v30, s[60:61]                 // 00000000A90C: D100001E 00F23D7D
	v_cndmask_b32_e64 v31, v125, v31, s[60:61]                 // 00000000A914: D100001F 00F23F7D
	s_branch label_1A84                                        // 00000000A91C: BF820019

000000000000a920 <label_1A6B>:
	v_mov_b32_e32 v28, v125                                    // 00000000A920: 7E38037D
	v_mov_b32_e32 v29, v125                                    // 00000000A924: 7E3A037D
	v_mov_b32_e32 v30, v125                                    // 00000000A928: 7E3C037D
	v_mov_b32_e32 v31, v125                                    // 00000000A92C: 7E3E037D
	s_branch label_1A84                                        // 00000000A930: BF820014

000000000000a934 <label_1A70>:
	s_mov_b32 s60, 0x80                                        // 00000000A934: BEBC00FF 00000080
	v_and_b32_e32 v20, 15, v0                                  // 00000000A93C: 2628008F
	v_add_u32_e64 v20, v20, s60                                // 00000000A940: D1340014 00007914
	v_mul_i32_i24_e64 v21, s46, 16                             // 00000000A948: D1060015 0001202E
	v_add_u32_e32 v20, v20, v21                                // 00000000A950: 68282B14
	v_cmp_lt_u32_e64 s[60:61], v20, s99                        // 00000000A954: D0C9003C 0000C714
	s_nop 1                                                    // 00000000A95C: BF800001
	v_cndmask_b32_e64 v32, v125, v32, s[60:61]                 // 00000000A960: D1000020 00F2417D
	v_cndmask_b32_e64 v33, v125, v33, s[60:61]                 // 00000000A968: D1000021 00F2437D
	v_cndmask_b32_e64 v34, v125, v34, s[60:61]                 // 00000000A970: D1000022 00F2457D
	v_cndmask_b32_e64 v35, v125, v35, s[60:61]                 // 00000000A978: D1000023 00F2477D
	s_branch label_1A9D                                        // 00000000A980: BF820019

000000000000a984 <label_1A84>:
	v_mov_b32_e32 v32, v125                                    // 00000000A984: 7E40037D
	v_mov_b32_e32 v33, v125                                    // 00000000A988: 7E42037D
	v_mov_b32_e32 v34, v125                                    // 00000000A98C: 7E44037D
	v_mov_b32_e32 v35, v125                                    // 00000000A990: 7E46037D
	s_branch label_1A9D                                        // 00000000A994: BF820014

000000000000a998 <label_1A89>:
	s_mov_b32 s60, 0xc0                                        // 00000000A998: BEBC00FF 000000C0
	v_and_b32_e32 v20, 15, v0                                  // 00000000A9A0: 2628008F
	v_add_u32_e64 v20, v20, s60                                // 00000000A9A4: D1340014 00007914
	v_mul_i32_i24_e64 v21, s46, 16                             // 00000000A9AC: D1060015 0001202E
	v_add_u32_e32 v20, v20, v21                                // 00000000A9B4: 68282B14
	v_cmp_lt_u32_e64 s[60:61], v20, s99                        // 00000000A9B8: D0C9003C 0000C714
	s_nop 1                                                    // 00000000A9C0: BF800001
	v_cndmask_b32_e64 v36, v125, v36, s[60:61]                 // 00000000A9C4: D1000024 00F2497D
	v_cndmask_b32_e64 v37, v125, v37, s[60:61]                 // 00000000A9CC: D1000025 00F24B7D
	v_cndmask_b32_e64 v38, v125, v38, s[60:61]                 // 00000000A9D4: D1000026 00F24D7D
	v_cndmask_b32_e64 v39, v125, v39, s[60:61]                 // 00000000A9DC: D1000027 00F24F7D
	s_branch label_1AA2                                        // 00000000A9E4: BF820005

000000000000a9e8 <label_1A9D>:
	v_mov_b32_e32 v36, v125                                    // 00000000A9E8: 7E48037D
	v_mov_b32_e32 v37, v125                                    // 00000000A9EC: 7E4A037D
	v_mov_b32_e32 v38, v125                                    // 00000000A9F0: 7E4C037D
	v_mov_b32_e32 v39, v125                                    // 00000000A9F4: 7E4E037D
	s_branch label_1AA2                                        // 00000000A9F8: BF820000

000000000000a9fc <label_1AA2>:
	s_addk_i32 s74, 0x1                                        // 00000000A9FC: B74A0001
	s_waitcnt lgkmcnt(8)                                       // 00000000AA00: BF8CC87F
	v_mfma_f32_16x16x32_f16 v[56:59], v[72:75], a[48:51], 0    // 00000000AA04: D3D40038 12026148
	v_exp_f32_e32 v24, v24                                     // 00000000AA0C: 7E304118
	v_exp_f32_e32 v25, v25                                     // 00000000AA10: 7E324119
	v_mfma_f32_16x16x32_f16 v[56:59], v[76:79], a[52:55], v[56:59]// 00000000AA14: D3D40038 14E2694C
	v_exp_f32_e32 v26, v26                                     // 00000000AA1C: 7E34411A
	v_exp_f32_e32 v27, v27                                     // 00000000AA20: 7E36411B
	v_mfma_f32_16x16x32_f16 v[56:59], v[80:83], a[56:59], v[56:59]// 00000000AA24: D3D40038 14E27150
	v_fma_f32 v36, v36, s57, -v104                             // 00000000AA2C: D1CB0024 85A07324
	v_fma_f32 v37, v37, s57, -v105                             // 00000000AA34: D1CB0025 85A47325
	v_exp_f32_e32 v28, v28                                     // 00000000AA3C: 7E38411C
	v_exp_f32_e32 v29, v29                                     // 00000000AA40: 7E3A411D
	v_mfma_f32_16x16x32_f16 v[56:59], v[84:87], a[60:63], v[56:59]// 00000000AA44: D3D40038 14E27954
	ds_read_b64_tr_b16 a[112:113], v10 offset:8192             // 00000000AA4C: DBC62000 7000000A
	ds_read_b64_tr_b16 a[114:115], v10 offset:8448             // 00000000AA54: DBC62100 7200000A
	v_mfma_f32_16x16x32_f16 v[60:63], v[72:75], a[64:67], 0    // 00000000AA5C: D3D4003C 12028148
	v_fma_f32 v38, v38, s57, -v106                             // 00000000AA64: D1CB0026 85A87326
	v_fma_f32 v39, v39, s57, -v107                             // 00000000AA6C: D1CB0027 85AC7327
	v_exp_f32_e32 v30, v30                                     // 00000000AA74: 7E3C411E
	v_exp_f32_e32 v31, v31                                     // 00000000AA78: 7E3E411F
	v_mfma_f32_16x16x32_f16 v[60:63], v[76:79], a[68:71], v[60:63]// 00000000AA7C: D3D4003C 14F2894C
	ds_read_b64_tr_b16 a[116:117], v10 offset:9216             // 00000000AA84: DBC62400 7400000A
	ds_read_b64_tr_b16 a[118:119], v10 offset:9472             // 00000000AA8C: DBC62500 7600000A
	v_mfma_f32_16x16x32_f16 v[60:63], v[80:83], a[72:75], v[60:63]// 00000000AA94: D3D4003C 14F29150
	v_exp_f32_e32 v32, v32                                     // 00000000AA9C: 7E404120
	v_exp_f32_e32 v33, v33                                     // 00000000AAA0: 7E424121
	v_mfma_f32_16x16x32_f16 v[60:63], v[84:87], a[76:79], v[60:63]// 00000000AAA4: D3D4003C 14F29954
	v_cvt_pk_f16_f32 v116, v24, v25                            // 00000000AAAC: D2670074 00023318
	v_cvt_pk_f16_f32 v117, v26, v27                            // 00000000AAB4: D2670075 0002371A
	v_exp_f32_e32 v34, v34                                     // 00000000AABC: 7E444122
	v_mfma_f32_16x16x32_f16 v[64:67], v[72:75], a[80:83], 0    // 00000000AAC0: D3D40040 1202A148
	v_exp_f32_e32 v35, v35                                     // 00000000AAC8: 7E464123
	v_exp_f32_e32 v36, v36                                     // 00000000AACC: 7E484124
	v_mfma_f32_16x16x32_f16 v[64:67], v[76:79], a[84:87], v[64:67]// 00000000AAD0: D3D40040 1502A94C
	v_cvt_pk_f16_f32 v118, v28, v29                            // 00000000AAD8: D2670076 00023B1C
	v_cvt_pk_f16_f32 v119, v30, v31                            // 00000000AAE0: D2670077 00023F1E
	v_exp_f32_e32 v37, v37                                     // 00000000AAE8: 7E4A4125
	v_mfma_f32_16x16x32_f16 v[64:67], v[80:83], a[88:91], v[64:67]// 00000000AAEC: D3D40040 1502B150
	v_exp_f32_e32 v38, v38                                     // 00000000AAF4: 7E4C4126
	v_exp_f32_e32 v39, v39                                     // 00000000AAF8: 7E4E4127
	v_permlane16_swap_b32_e32 v116, v118                       // 00000000AAFC: 7EE8B376
	v_mfma_f32_16x16x32_f16 v[64:67], v[84:87], a[92:95], v[64:67]// 00000000AB00: D3D40040 1502B954
	ds_read_b64_tr_b16 a[120:121], v10 offset:10240            // 00000000AB08: DBC62800 7800000A
	ds_read_b64_tr_b16 a[122:123], v10 offset:10496            // 00000000AB10: DBC62900 7A00000A
	v_mfma_f32_16x16x32_f16 v[68:71], v[72:75], a[96:99], 0    // 00000000AB18: D3D40044 1202C148
	v_cvt_pk_f16_f32 v120, v32, v33                            // 00000000AB20: D2670078 00024320
	v_cvt_pk_f16_f32 v121, v34, v35                            // 00000000AB28: D2670079 00024722
	v_cvt_pk_f16_f32 v122, v36, v37                            // 00000000AB30: D267007A 00024B24
	v_cvt_pk_f16_f32 v123, v38, v39                            // 00000000AB38: D267007B 00024F26
	v_permlane16_swap_b32_e32 v117, v119                       // 00000000AB40: 7EEAB377
	v_mfma_f32_16x16x32_f16 v[68:71], v[76:79], a[100:103], v[68:71]// 00000000AB44: D3D40044 1512C94C
	ds_read_b64_tr_b16 a[124:125], v10 offset:11264            // 00000000AB4C: DBC62C00 7C00000A
	ds_read_b64_tr_b16 a[126:127], v10 offset:11520            // 00000000AB54: DBC62D00 7E00000A
	v_mfma_f32_16x16x32_f16 v[68:71], v[80:83], a[104:107], v[68:71]// 00000000AB5C: D3D40044 1512D150
	v_permlane16_swap_b32_e32 v120, v122                       // 00000000AB64: 7EF0B37A
	v_mfma_f32_16x16x32_f16 v[68:71], v[84:87], a[108:111], v[68:71]// 00000000AB68: D3D40044 1512D954
	v_permlane16_swap_b32_e32 v121, v123                       // 00000000AB70: 7EF2B37B
	s_waitcnt lgkmcnt(8)                                       // 00000000AB74: BF8CC87F
	v_mfma_f32_32x32x16_f16 v[126:141], v[88:91], v[116:119], v[126:141]// 00000000AB78: D3D5007E 05FAE958
	v_subrev_f32_dpp v56, v124, v56 quad_perm:[0,0,0,0] row_mask:0xf bank_mask:0xf// 00000000AB80: 067070FA FF00007C
	v_subrev_f32_dpp v57, v124, v57 quad_perm:[1,1,1,1] row_mask:0xf bank_mask:0xf// 00000000AB88: 067272FA FF00557C
	v_subrev_f32_dpp v58, v124, v58 quad_perm:[2,2,2,2] row_mask:0xf bank_mask:0xf// 00000000AB90: 067474FA FF00AA7C
	v_subrev_f32_dpp v59, v124, v59 quad_perm:[3,3,3,3] row_mask:0xf bank_mask:0xf// 00000000AB98: 067676FA FF00FF7C
	v_subrev_f32_dpp v60, v124, v60 quad_perm:[0,0,0,0] row_mask:0xf bank_mask:0xf// 00000000ABA0: 067878FA FF00007C
	v_subrev_f32_dpp v61, v124, v61 quad_perm:[1,1,1,1] row_mask:0xf bank_mask:0xf// 00000000ABA8: 067A7AFA FF00557C
	v_subrev_f32_dpp v62, v124, v62 quad_perm:[2,2,2,2] row_mask:0xf bank_mask:0xf// 00000000ABB0: 067C7CFA FF00AA7C
	v_subrev_f32_dpp v63, v124, v63 quad_perm:[3,3,3,3] row_mask:0xf bank_mask:0xf// 00000000ABB8: 067E7EFA FF00FF7C
	v_mul_f32_e32 v56, v24, v56                                // 00000000ABC0: 0A707118
	v_mul_f32_e32 v57, v25, v57                                // 00000000ABC4: 0A727319
	v_mfma_f32_32x32x16_f16 v[142:157], v[92:95], v[116:119], v[142:157]// 00000000ABC8: D3D5008E 063AE95C
	ds_read_b64_tr_b16 a[0:1], v15                             // 00000000ABD0: DBC60000 0000000F
	ds_read_b64_tr_b16 a[2:3], v15 offset:256                  // 00000000ABD8: DBC60100 0200000F
	ds_read_b64_tr_b16 a[4:5], v16                             // 00000000ABE0: DBC60000 04000010
	ds_read_b64_tr_b16 a[6:7], v16 offset:256                  // 00000000ABE8: DBC60100 06000010
	buffer_atomic_pk_add_f16 v108, v4, s[32:35], 0 offen       // 00000000ABF0: E1381000 80086C04
	v_mfma_f32_32x32x16_f16 v[158:173], v[96:99], v[116:119], v[158:173]// 00000000ABF8: D3D5009E 067AE960
	v_mul_f32_e32 v58, v26, v58                                // 00000000AC00: 0A74751A
	v_mul_f32_e32 v59, v27, v59                                // 00000000AC04: 0A76771B
	v_mul_f32_e32 v60, v28, v60                                // 00000000AC08: 0A78791C
	v_mul_f32_e32 v61, v29, v61                                // 00000000AC0C: 0A7A7B1D
	v_mul_f32_e32 v62, v30, v62                                // 00000000AC10: 0A7C7D1E
	v_mul_f32_e32 v63, v31, v63                                // 00000000AC14: 0A7E7F1F
	v_cvt_pk_f16_f32 v56, v56, v57                             // 00000000AC18: D2670038 00027338
	v_cvt_pk_f16_f32 v57, v58, v59                             // 00000000AC20: D2670039 0002773A
	v_cvt_pk_f16_f32 v58, v60, v61                             // 00000000AC28: D267003A 00027B3C
	v_cvt_pk_f16_f32 v59, v62, v63                             // 00000000AC30: D267003B 00027F3E
	v_subrev_f32_dpp v64, v124, v64 quad_perm:[0,0,0,0] row_mask:0xf bank_mask:0xf// 00000000AC38: 068080FA FF00007C
	v_subrev_f32_dpp v65, v124, v65 quad_perm:[1,1,1,1] row_mask:0xf bank_mask:0xf// 00000000AC40: 068282FA FF00557C
	v_subrev_f32_dpp v66, v124, v66 quad_perm:[2,2,2,2] row_mask:0xf bank_mask:0xf// 00000000AC48: 068484FA FF00AA7C
	v_subrev_f32_dpp v67, v124, v67 quad_perm:[3,3,3,3] row_mask:0xf bank_mask:0xf// 00000000AC50: 068686FA FF00FF7C
	v_mfma_f32_32x32x16_f16 v[174:189], v[100:103], v[116:119], v[174:189]// 00000000AC58: D3D500AE 06BAE964
	ds_read_b64_tr_b16 a[8:9], v15 offset:8192                 // 00000000AC60: DBC62000 0800000F
	ds_read_b64_tr_b16 a[10:11], v15 offset:8448               // 00000000AC68: DBC62100 0A00000F
	ds_read_b64_tr_b16 a[12:13], v16 offset:8192               // 00000000AC70: DBC62000 0C000010
	ds_read_b64_tr_b16 a[14:15], v16 offset:8448               // 00000000AC78: DBC62100 0E000010
	v_mfma_f32_32x32x16_f16 v[190:205], v[88:91], v[120:123], v[190:205]// 00000000AC80: D3D500BE 06FAF158
	v_subrev_f32_dpp v68, v124, v68 quad_perm:[0,0,0,0] row_mask:0xf bank_mask:0xf// 00000000AC88: 068888FA FF00007C
	v_subrev_f32_dpp v69, v124, v69 quad_perm:[1,1,1,1] row_mask:0xf bank_mask:0xf// 00000000AC90: 068A8AFA FF00557C
	v_subrev_f32_dpp v70, v124, v70 quad_perm:[2,2,2,2] row_mask:0xf bank_mask:0xf// 00000000AC98: 068C8CFA FF00AA7C
	v_subrev_f32_dpp v71, v124, v71 quad_perm:[3,3,3,3] row_mask:0xf bank_mask:0xf// 00000000ACA0: 068E8EFA FF00FF7C
	v_mul_f32_e32 v64, v32, v64                                // 00000000ACA8: 0A808120
	v_mul_f32_e32 v65, v33, v65                                // 00000000ACAC: 0A828321
	v_mul_f32_e32 v66, v34, v66                                // 00000000ACB0: 0A848522
	v_mul_f32_e32 v67, v35, v67                                // 00000000ACB4: 0A868723
	v_mul_f32_e32 v68, v36, v68                                // 00000000ACB8: 0A888924
	v_mul_f32_e32 v69, v37, v69                                // 00000000ACBC: 0A8A8B25
	v_mul_f32_e32 v70, v38, v70                                // 00000000ACC0: 0A8C8D26
	v_mul_f32_e32 v71, v39, v71                                // 00000000ACC4: 0A8E8F27
	v_cvt_pk_f16_f32 v60, v64, v65                             // 00000000ACC8: D267003C 00028340
	v_cvt_pk_f16_f32 v61, v66, v67                             // 00000000ACD0: D267003D 00028742
	v_cvt_pk_f16_f32 v62, v68, v69                             // 00000000ACD8: D267003E 00028B44
	v_cvt_pk_f16_f32 v63, v70, v71                             // 00000000ACE0: D267003F 00028F46
	v_mfma_f32_32x32x16_f16 v[206:221], v[92:95], v[120:123], v[206:221]// 00000000ACE8: D3D500CE 073AF15C
	ds_read_b64_tr_b16 a[16:17], v15 offset:16384              // 00000000ACF0: DBC64000 1000000F
	ds_read_b64_tr_b16 a[18:19], v15 offset:16640              // 00000000ACF8: DBC64100 1200000F
	ds_write_b64 v12, v[56:57] offset:32768                    // 00000000AD00: D89A8000 0000380C
	ds_write_b64 v12, v[58:59] offset:35072                    // 00000000AD08: D89A8900 00003A0C
	buffer_atomic_pk_add_f16 v109, v5, s[32:35], 0 offen       // 00000000AD10: E1381000 80086D05
	v_mfma_f32_32x32x16_f16 v[222:237], v[96:99], v[120:123], v[222:237]// 00000000AD18: D3D500DE 077AF160
	v_permlane16_swap_b32_e32 v56, v58                         // 00000000AD20: 7E70B33A
	v_permlane16_swap_b32_e32 v57, v59                         // 00000000AD24: 7E72B33B
	s_nop 1                                                    // 00000000AD28: BF800001
	v_mfma_f32_32x32x16_f16 v[238:253], v[100:103], v[120:123], v[238:253]// 00000000AD2C: D3D500EE 07BAF164
	ds_read_b32 v104, v13 offset:43520                         // 00000000AD34: D86CAA00 6800000D
	ds_read_b32 v124, v13 offset:43776                         // 00000000AD3C: D86CAB00 7C00000D
	ds_write_b64 v12, v[60:61] offset:37376                    // 00000000AD44: D89A9200 00003C0C
	ds_write_b64 v12, v[62:63] offset:39680                    // 00000000AD4C: D89A9B00 00003E0C
	s_waitcnt lgkmcnt(12)                                      // 00000000AD54: BF8CCC7F
	v_mfma_f32_32x32x16_f16 a[128:143], a[112:115], v[56:59], a[128:143]// 00000000AD58: D3D58080 0E027170
	v_permlane16_swap_b32_e32 v60, v62                         // 00000000AD60: 7E78B33E
	buffer_atomic_pk_add_f16 v110, v6, s[32:35], 0 offen       // 00000000AD64: E1381000 80086E06
	v_mfma_f32_32x32x16_f16 a[144:159], a[116:119], v[56:59], a[144:159]// 00000000AD6C: D3D58090 0E427174
	ds_read_b64_tr_b16 a[20:21], v16 offset:16384              // 00000000AD74: DBC64000 14000010
	ds_read_b64_tr_b16 a[22:23], v16 offset:16640              // 00000000AD7C: DBC64100 16000010
	ds_read_b64_tr_b16 a[24:25], v15 offset:24576              // 00000000AD84: DBC66000 1800000F
	ds_read_b64_tr_b16 a[26:27], v15 offset:24832              // 00000000AD8C: DBC66100 1A00000F
	ds_read_b64_tr_b16 a[28:29], v16 offset:24576              // 00000000AD94: DBC66000 1C000010
	ds_read_b64_tr_b16 a[30:31], v16 offset:24832              // 00000000AD9C: DBC66100 1E000010
	ds_read_b64_tr_b16 a[32:33], v15 offset:32768              // 00000000ADA4: DBC68000 2000000F
	ds_read_b64_tr_b16 a[34:35], v15 offset:33024              // 00000000ADAC: DBC68100 2200000F
	s_waitcnt lgkmcnt(8)                                       // 00000000ADB4: BF8CC87F
	s_barrier                                                  // 00000000ADB8: BF8A0000
	v_mfma_f32_32x32x16_f16 a[160:175], a[120:123], v[56:59], a[160:175]// 00000000ADBC: D3D580A0 0E827178
	v_permlane16_swap_b32_e32 v61, v63                         // 00000000ADC4: 7E7AB33F
	v_mul_f32_e32 v104, s48, v104                              // 00000000ADC8: 0AD0D030
	v_mfma_f32_32x32x16_f16 a[176:191], a[124:127], v[56:59], a[176:191]// 00000000ADCC: D3D580B0 0EC2717C
	ds_read_b64_tr_b16 v[24:25], v11 offset:32768              // 00000000ADD4: D9C68000 1800000B
	ds_read_b64_tr_b16 v[26:27], v11 offset:32800              // 00000000ADDC: D9C68020 1A00000B
	ds_read_b64_tr_b16 v[28:29], v11 offset:33920              // 00000000ADE4: D9C68480 1C00000B
	ds_read_b64_tr_b16 v[30:31], v11 offset:33952              // 00000000ADEC: D9C684A0 1E00000B
	ds_read_b64_tr_b16 v[32:33], v11 offset:35072              // 00000000ADF4: D9C68900 2000000B
	ds_read_b64_tr_b16 v[34:35], v11 offset:35104              // 00000000ADFC: D9C68920 2200000B
	ds_read_b64_tr_b16 v[36:37], v11 offset:36224              // 00000000AE04: D9C68D80 2400000B
	ds_read_b64_tr_b16 v[38:39], v11 offset:36256              // 00000000AE0C: D9C68DA0 2600000B
	v_mfma_f32_32x32x16_f16 a[192:207], a[112:115], v[60:63], a[192:207]// 00000000AE14: D3D580C0 0F027970
	v_mov_b32_dpp v107, v104 quad_perm:[3,3,3,3] row_mask:0xf bank_mask:0xf// 00000000AE1C: 7ED602FA FF00FF68
	v_mov_b32_dpp v106, v104 quad_perm:[2,2,2,2] row_mask:0xf bank_mask:0xf// 00000000AE24: 7ED402FA FF00AA68
	buffer_atomic_pk_add_f16 v111, v7, s[32:35], 0 offen       // 00000000AE2C: E1381000 80086F07
	v_mfma_f32_32x32x16_f16 a[208:223], a[116:119], v[60:63], a[208:223]// 00000000AE34: D3D580D0 0F427974
	ds_read_b64_tr_b16 v[40:41], v11 offset:37376              // 00000000AE3C: D9C69200 2800000B
	ds_read_b64_tr_b16 v[42:43], v11 offset:37408              // 00000000AE44: D9C69220 2A00000B
	ds_read_b64_tr_b16 v[44:45], v11 offset:38528              // 00000000AE4C: D9C69680 2C00000B
	ds_read_b64_tr_b16 v[46:47], v11 offset:38560              // 00000000AE54: D9C696A0 2E00000B
	ds_read_b64_tr_b16 a[36:37], v16 offset:32768              // 00000000AE5C: DBC68000 24000010
	ds_read_b64_tr_b16 a[38:39], v16 offset:33024              // 00000000AE64: DBC68100 26000010
	ds_read_b64_tr_b16 a[40:41], v15 offset:40960              // 00000000AE6C: DBC6A000 2800000F
	ds_read_b64_tr_b16 a[42:43], v15 offset:41216              // 00000000AE74: DBC6A100 2A00000F
	v_mfma_f32_32x32x16_f16 a[224:239], a[120:123], v[60:63], a[224:239]// 00000000AE7C: D3D580E0 0F827978
	v_mov_b32_dpp v105, v104 quad_perm:[1,1,1,1] row_mask:0xf bank_mask:0xf// 00000000AE84: 7ED202FA FF005568
	v_mov_b32_dpp v104, v104 quad_perm:[0,0,0,0] row_mask:0xf bank_mask:0xf// 00000000AE8C: 7ED002FA FF000068
	v_mfma_f32_32x32x16_f16 a[240:255], a[124:127], v[60:63], a[240:255]// 00000000AE94: D3D580F0 0FC2797C
	ds_read_b64_tr_b16 v[48:49], v11 offset:39680              // 00000000AE9C: D9C69B00 3000000B
	ds_read_b64_tr_b16 v[50:51], v11 offset:39712              // 00000000AEA4: D9C69B20 3200000B
	ds_read_b64_tr_b16 v[52:53], v11 offset:40832              // 00000000AEAC: D9C69F80 3400000B
	ds_read_b64_tr_b16 v[54:55], v11 offset:40864              // 00000000AEB4: D9C69FA0 3600000B
	ds_read_b64_tr_b16 a[44:45], v16 offset:40960              // 00000000AEBC: DBC6A000 2C000010
	ds_read_b64_tr_b16 a[46:47], v16 offset:41216              // 00000000AEC4: DBC6A100 2E000010
	s_waitcnt vmcnt(4) lgkmcnt(6)                              // 00000000AECC: BF8C0674
	s_barrier                                                  // 00000000AED0: BF8A0000
	v_mfma_f32_16x16x32_f16 v[108:111], a[0:3], v[24:27], 0    // 00000000AED4: D3D4006C 0A023100
	s_mov_b32 m0, s83                                          // 00000000AEDC: BEFC0053
	buffer_load_dwordx4 v1, s[8:11], 0 idxen lds               // 00000000AEE0: E05D2000 80020001
	v_mfma_f32_16x16x32_f16 v[108:111], a[8:11], v[28:31], v[108:111]// 00000000AEE8: D3D4006C 0DB23908
	ds_read_b64_tr_b16 v[56:57], v15 offset:49152              // 00000000AEF0: D9C6C000 3800000F
	ds_read_b64_tr_b16 v[58:59], v15 offset:49408              // 00000000AEF8: D9C6C100 3A00000F
	ds_read_b64_tr_b16 v[60:61], v16 offset:49152              // 00000000AF00: D9C6C000 3C000010
	ds_read_b64_tr_b16 v[62:63], v16 offset:49408              // 00000000AF08: D9C6C100 3E000010
	v_mfma_f32_16x16x32_f16 v[108:111], a[16:19], v[32:35], v[108:111]// 00000000AF10: D3D4006C 0DB24110
	s_mov_b32 m0, s87                                          // 00000000AF18: BEFC0057
	buffer_load_dwordx4 v254, s[20:23], 0 idxen lds            // 00000000AF1C: E05D2000 800500FE
	v_mfma_f32_16x16x32_f16 v[108:111], a[24:27], v[36:39], v[108:111]// 00000000AF24: D3D4006C 0DB24918
	ds_read_b64_tr_b16 v[64:65], v15 offset:57344              // 00000000AF2C: D9C6E000 4000000F
	ds_read_b64_tr_b16 v[66:67], v15 offset:57600              // 00000000AF34: D9C6E100 4200000F
	ds_read_b64_tr_b16 v[68:69], v16 offset:57344              // 00000000AF3C: D9C6E000 44000010
	ds_read_b64_tr_b16 v[70:71], v16 offset:57600              // 00000000AF44: D9C6E100 46000010
	v_mfma_f32_16x16x32_f16 v[108:111], a[32:35], v[40:43], v[108:111]// 00000000AF4C: D3D4006C 0DB25120
	s_mov_b32 m0, s79                                          // 00000000AF54: BEFC004F
	buffer_load_dword v8, s[24:27], 0 idxen lds                // 00000000AF58: E0512000 80060008
	v_mfma_f32_16x16x32_f16 v[108:111], a[40:43], v[44:47], v[108:111]// 00000000AF60: D3D4006C 0DB25928
	ds_read_b128 a[112:115], v9 offset:12288                   // 00000000AF68: DBFE3000 70000009
	ds_read_b128 a[116:119], v9 offset:13312                   // 00000000AF70: DBFE3400 74000009
	s_waitcnt lgkmcnt(4)                                       // 00000000AF78: BF8CC47F
	s_barrier                                                  // 00000000AF7C: BF8A0000
	v_mfma_f32_16x16x32_f16 v[108:111], v[56:59], v[48:51], v[108:111]// 00000000AF80: D3D4006C 05B26138
	s_add_u32 s60, 64, s59                                     // 00000000AF88: 803C3BC0
	s_cmp_lt_u32 s60, s58                                      // 00000000AF8C: BF0A3A3C
	s_cselect_b32 s68, s68, 0                                  // 00000000AF90: 85448044
	s_cselect_b32 s98, s98, 0                                  // 00000000AF94: 85628062
	s_cselect_b32 s69, s69, 0                                  // 00000000AF98: 85458045
	v_mfma_f32_16x16x32_f16 v[108:111], v[64:67], v[52:55], v[108:111]// 00000000AF9C: D3D4006C 05B26940
	ds_read_b128 a[120:123], v9 offset:14336                   // 00000000AFA4: DBFE3800 78000009
	ds_read_b128 a[124:127], v9 offset:15360                   // 00000000AFAC: DBFE3C00 7C000009
	v_mfma_f32_16x16x32_f16 v[112:115], a[4:7], v[24:27], 0    // 00000000AFB4: D3D40070 0A023104
	v_add_u32_e32 v1, s68, v1                                  // 00000000AFBC: 68020244
	v_add_u32_e32 v254, s98, v254                              // 00000000AFC0: 69FDFC62
	v_add_u32_e32 v8, s69, v8                                  // 00000000AFC4: 68101045
	v_mfma_f32_16x16x32_f16 v[112:115], a[12:15], v[28:31], v[112:115]// 00000000AFC8: D3D40070 0DC2390C
	ds_read_b128 a[0:3], v14                                   // 00000000AFD0: DBFE0000 0000000E
	ds_read_b128 a[4:7], v14 offset:1024                       // 00000000AFD8: DBFE0400 0400000E
	v_mfma_f32_16x16x32_f16 v[112:115], a[20:23], v[32:35], v[112:115]// 00000000AFE0: D3D40070 0DC24114
	v_mul_f32_e32 v108, s47, v108                              // 00000000AFE8: 0AD8D82F
	v_mul_f32_e32 v109, s47, v109                              // 00000000AFEC: 0ADADA2F
	v_mfma_f32_16x16x32_f16 v[112:115], a[28:31], v[36:39], v[112:115]// 00000000AFF0: D3D40070 0DC2491C
	ds_read_b128 a[8:11], v14 offset:2048                      // 00000000AFF8: DBFE0800 0800000E
	ds_read_b128 a[12:15], v14 offset:3072                     // 00000000B000: DBFE0C00 0C00000E
	v_mfma_f32_16x16x32_f16 v[112:115], a[36:39], v[40:43], v[112:115]// 00000000B008: D3D40070 0DC25124
	v_mul_f32_e32 v110, s47, v110                              // 00000000B010: 0ADCDC2F
	s_cmp_ge_u32 s59, s73                                      // 00000000B014: BF09493B
	s_cselect_b32 s66, s67, s66                                // 00000000B018: 85424243
	v_mfma_f32_16x16x32_f16 v[112:115], a[44:47], v[44:47], v[112:115]// 00000000B01C: D3D40070 0DC2592C
	ds_read_b128 a[16:19], v14 offset:16384                    // 00000000B024: DBFE4000 1000000E
	ds_read_b128 a[20:23], v14 offset:17408                    // 00000000B02C: DBFE4400 1400000E
	s_waitcnt lgkmcnt(10)                                      // 00000000B034: BF8CCA7F
	v_mfma_f32_16x16x32_f16 v[112:115], v[60:63], v[48:51], v[112:115]// 00000000B038: D3D40070 05C2613C
	s_addk_i32 s59, 0x10                                       // 00000000B040: B73B0010
	v_mul_f32_e32 v111, s47, v111                              // 00000000B044: 0ADEDE2F
	s_cmp_lt_i32 s59, s58                                      // 00000000B048: BF043A3B
	v_mfma_f32_16x16x32_f16 v[112:115], v[68:71], v[52:55], v[112:115]// 00000000B04C: D3D40070 05C26944
	ds_read_b128 a[24:27], v14 offset:18432                    // 00000000B054: DBFE4800 1800000E
	ds_read_b128 a[28:31], v14 offset:19456                    // 00000000B05C: DBFE4C00 1C00000E
	s_cbranch_scc0 label_12E0                                  // 00000000B064: BF84F6B2
	s_waitcnt lgkmcnt(2)                                       // 00000000B068: BF8CC27F
	v_mfma_f32_16x16x32_f16 v[24:27], a[112:115], a[0:3], 0    // 00000000B06C: D3D40018 1A020170
	v_add_u32_e32 v4, s66, v4                                  // 00000000B074: 68080842
	v_add_u32_e32 v5, s66, v5                                  // 00000000B078: 680A0A42
	v_add_u32_e32 v6, s66, v6                                  // 00000000B07C: 680C0C42
	v_add_u32_e32 v7, s66, v7                                  // 00000000B080: 680E0E42
	v_mfma_f32_16x16x32_f16 v[24:27], a[116:119], a[4:7], v[24:27]// 00000000B084: D3D40018 1C620974
	ds_read_b128 a[32:35], v14 offset:32768                    // 00000000B08C: DBFE8000 2000000E
	ds_read_b128 a[36:39], v14 offset:33792                    // 00000000B094: DBFE8400 2400000E
	v_mfma_f32_16x16x32_f16 v[24:27], a[120:123], a[8:11], v[24:27]// 00000000B09C: D3D40018 1C621178
	v_mul_f32_e32 v112, s47, v112                              // 00000000B0A4: 0AE0E02F
	v_mul_f32_e32 v113, s47, v113                              // 00000000B0A8: 0AE2E22F
	v_mfma_f32_16x16x32_f16 v[24:27], a[124:127], a[12:15], v[24:27]// 00000000B0AC: D3D40018 1C62197C
	ds_read_b128 a[40:43], v14 offset:34816                    // 00000000B0B4: DBFE8800 2800000E
	ds_read_b128 a[44:47], v14 offset:35840                    // 00000000B0BC: DBFE8C00 2C00000E
	v_mfma_f32_16x16x32_f16 v[28:31], a[112:115], a[16:19], 0  // 00000000B0C4: D3D4001C 1A022170
	v_mul_f32_e32 v114, s47, v114                              // 00000000B0CC: 0AE4E42F
	v_mul_f32_e32 v115, s47, v115                              // 00000000B0D0: 0AE6E62F
	v_mfma_f32_16x16x32_f16 v[28:31], a[116:119], a[20:23], v[28:31]// 00000000B0D4: D3D4001C 1C722974
	ds_read_b128 v[56:59], v14 offset:49152                    // 00000000B0DC: D9FEC000 3800000E
	ds_read_b128 v[60:63], v14 offset:50176                    // 00000000B0E4: D9FEC400 3C00000E
	s_waitcnt lgkmcnt(6)                                       // 00000000B0EC: BF8CC67F
	v_mfma_f32_16x16x32_f16 v[28:31], a[120:123], a[24:27], v[28:31]// 00000000B0F0: D3D4001C 1C723178
	v_fma_f32 v24, v24, s57, -v104                             // 00000000B0F8: D1CB0018 85A07318
	v_fma_f32 v25, v25, s57, -v105                             // 00000000B100: D1CB0019 85A47319
	v_mfma_f32_16x16x32_f16 v[28:31], a[124:127], a[28:31], v[28:31]// 00000000B108: D3D4001C 1C72397C
	ds_read_b128 v[64:67], v14 offset:51200                    // 00000000B110: D9FEC800 4000000E
	ds_read_b128 v[68:71], v14 offset:52224                    // 00000000B118: D9FECC00 4400000E
	s_waitcnt lgkmcnt(6)                                       // 00000000B120: BF8CC67F
	v_mfma_f32_16x16x32_f16 v[32:35], a[112:115], a[32:35], 0  // 00000000B124: D3D40020 1A024170
	v_fma_f32 v26, v26, s57, -v106                             // 00000000B12C: D1CB001A 85A8731A
	v_fma_f32 v27, v27, s57, -v107                             // 00000000B134: D1CB001B 85AC731B
	v_cvt_pk_f16_f32 v108, v108, v109                          // 00000000B13C: D267006C 0002DB6C
	v_cvt_pk_f16_f32 v109, v110, v111                          // 00000000B144: D267006D 0002DF6E
	v_mfma_f32_16x16x32_f16 v[32:35], a[116:119], a[36:39], v[32:35]// 00000000B14C: D3D40020 1C824974
	ds_read_b128 v[72:75], v9 offset:28672                     // 00000000B154: D9FE7000 48000009
	ds_read_b128 v[76:79], v9 offset:29696                     // 00000000B15C: D9FE7400 4C000009
	s_waitcnt lgkmcnt(6)                                       // 00000000B164: BF8CC67F
	v_mfma_f32_16x16x32_f16 v[32:35], a[120:123], a[40:43], v[32:35]// 00000000B168: D3D40020 1C825178
	v_fma_f32 v28, v28, s57, -v104                             // 00000000B170: D1CB001C 85A0731C
	v_fma_f32 v29, v29, s57, -v105                             // 00000000B178: D1CB001D 85A4731D
	v_cvt_pk_f16_f32 v110, v112, v113                          // 00000000B180: D267006E 0002E370
	v_cvt_pk_f16_f32 v111, v114, v115                          // 00000000B188: D267006F 0002E772
	v_mfma_f32_16x16x32_f16 v[32:35], a[124:127], a[44:47], v[32:35]// 00000000B190: D3D40020 1C82597C
	ds_read_b128 v[80:83], v9 offset:30720                     // 00000000B198: D9FE7800 50000009
	ds_read_b128 v[84:87], v9 offset:31744                     // 00000000B1A0: D9FE7C00 54000009
	s_waitcnt lgkmcnt(6)                                       // 00000000B1A8: BF8CC67F
	v_mfma_f32_16x16x32_f16 v[36:39], a[112:115], v[56:59], 0  // 00000000B1AC: D3D40024 0A027170
	v_fma_f32 v30, v30, s57, -v106                             // 00000000B1B4: D1CB001E 85A8731E
	v_fma_f32 v31, v31, s57, -v107                             // 00000000B1BC: D1CB001F 85AC731F
	v_mfma_f32_16x16x32_f16 v[36:39], a[116:119], v[60:63], v[36:39]// 00000000B1C4: D3D40024 0C927974
	ds_read_b64_tr_b16 v[88:89], v10 offset:28672              // 00000000B1CC: D9C67000 5800000A
	ds_read_b64_tr_b16 v[90:91], v10 offset:28928              // 00000000B1D4: D9C67100 5A00000A
	ds_read_b64_tr_b16 v[92:93], v10 offset:29696              // 00000000B1DC: D9C67400 5C00000A
	ds_read_b64_tr_b16 v[94:95], v10 offset:29952              // 00000000B1E4: D9C67500 5E00000A
	s_waitcnt lgkmcnt(8)                                       // 00000000B1EC: BF8CC87F
	v_mfma_f32_16x16x32_f16 v[36:39], a[120:123], v[64:67], v[36:39]// 00000000B1F0: D3D40024 0C928178
	v_fma_f32 v32, v32, s57, -v104                             // 00000000B1F8: D1CB0020 85A07320
	v_fma_f32 v33, v33, s57, -v105                             // 00000000B200: D1CB0021 85A47321
	v_fma_f32 v34, v34, s57, -v106                             // 00000000B208: D1CB0022 85A87322
	v_fma_f32 v35, v35, s57, -v107                             // 00000000B210: D1CB0023 85AC7323
	v_mfma_f32_16x16x32_f16 v[36:39], a[124:127], v[68:71], v[36:39]// 00000000B218: D3D40024 0C92897C
	ds_read_b64_tr_b16 v[96:97], v10 offset:30720              // 00000000B220: D9C67800 6000000A
	ds_read_b64_tr_b16 v[98:99], v10 offset:30976              // 00000000B228: D9C67900 6200000A
	ds_read_b64_tr_b16 v[100:101], v10 offset:31744            // 00000000B230: D9C67C00 6400000A
	ds_read_b64_tr_b16 v[102:103], v10 offset:32000            // 00000000B238: D9C67D00 6600000A
	s_cmp_lt_i32 s74, 16                                       // 00000000B240: BF04904A
	s_cbranch_scc0 label_1D4F                                  // 00000000B244: BF84009A
	s_mov_b32 s60, 0xffe0fffe                                  // 00000000B248: BEBC00FF FFE0FFFE
	s_mov_b32 s61, 0xe000fe00                                  // 00000000B250: BEBD00FF E000FE00
	s_nop 0                                                    // 00000000B258: BF800000
	s_add_u32 s62, 0, s46                                      // 00000000B25C: 803E2E80
	s_cmp_lt_i32 s74, s62                                      // 00000000B260: BF043E4A
	s_cbranch_scc1 label_1CEA                                  // 00000000B264: BF85002D
	s_cmp_eq_i32 s74, s62                                      // 00000000B268: BF003E4A
	s_cbranch_scc1 label_1CCF                                  // 00000000B26C: BF850010
	s_add_u32 s62, 4, s46                                      // 00000000B270: 803E2E84
	s_cmp_lt_i32 s74, s62                                      // 00000000B274: BF043E4A
	s_cbranch_scc1 label_1D0A                                  // 00000000B278: BF850048
	s_cmp_eq_i32 s74, s62                                      // 00000000B27C: BF003E4A
	s_cbranch_scc1 label_1CEF                                  // 00000000B280: BF85002B
	s_add_u32 s62, 8, s46                                      // 00000000B284: 803E2E88
	s_cmp_lt_i32 s74, s62                                      // 00000000B288: BF043E4A
	s_cbranch_scc1 label_1D2A                                  // 00000000B28C: BF850063
	s_cmp_eq_i32 s74, s62                                      // 00000000B290: BF003E4A
	s_cbranch_scc1 label_1D0F                                  // 00000000B294: BF850046
	s_add_u32 s62, 12, s46                                     // 00000000B298: 803E2E8C
	s_cmp_lt_i32 s74, s62                                      // 00000000B29C: BF043E4A
	s_cbranch_scc1 label_1D4A                                  // 00000000B2A0: BF85007E
	s_cmp_eq_i32 s74, s62                                      // 00000000B2A4: BF003E4A
	s_cbranch_scc1 label_1D2F                                  // 00000000B2A8: BF850061
	s_branch label_1D4F                                        // 00000000B2AC: BF820080

000000000000b2b0 <label_1CCF>:
	v_cndmask_b32_e64 v24, v24, v125, s[60:61]                 // 00000000B2B0: D1000018 00F2FB18
	s_lshl_b32 s60, s60, 1                                     // 00000000B2B8: 8E3C813C
	s_lshl_b32 s61, s61, 1                                     // 00000000B2BC: 8E3D813D
	s_and_b32 s60, 0xfffeffff, s60                             // 00000000B2C0: 863C3CFF FFFEFFFF
	s_and_b32 s61, 0xfffeffff, s61                             // 00000000B2C8: 863D3DFF FFFEFFFF
	v_cndmask_b32_e64 v25, v25, v125, s[60:61]                 // 00000000B2D0: D1000019 00F2FB19
	s_lshl_b32 s60, s60, 1                                     // 00000000B2D8: 8E3C813C
	s_lshl_b32 s61, s61, 1                                     // 00000000B2DC: 8E3D813D
	s_and_b32 s60, 0xfffeffff, s60                             // 00000000B2E0: 863C3CFF FFFEFFFF
	s_and_b32 s61, 0xfffeffff, s61                             // 00000000B2E8: 863D3DFF FFFEFFFF
	v_cndmask_b32_e64 v26, v26, v125, s[60:61]                 // 00000000B2F0: D100001A 00F2FB1A
	s_lshl_b32 s60, s60, 1                                     // 00000000B2F8: 8E3C813C
	s_lshl_b32 s61, s61, 1                                     // 00000000B2FC: 8E3D813D
	s_and_b32 s60, 0xfffeffff, s60                             // 00000000B300: 863C3CFF FFFEFFFF
	s_and_b32 s61, 0xfffeffff, s61                             // 00000000B308: 863D3DFF FFFEFFFF
	v_cndmask_b32_e64 v27, v27, v125, s[60:61]                 // 00000000B310: D100001B 00F2FB1B
	s_branch label_1D0A                                        // 00000000B318: BF820020

000000000000b31c <label_1CEA>:
	v_mov_b32_e32 v24, v125                                    // 00000000B31C: 7E30037D
	v_mov_b32_e32 v25, v125                                    // 00000000B320: 7E32037D
	v_mov_b32_e32 v26, v125                                    // 00000000B324: 7E34037D
	v_mov_b32_e32 v27, v125                                    // 00000000B328: 7E36037D
	s_branch label_1D0A                                        // 00000000B32C: BF82001B

000000000000b330 <label_1CEF>:
	v_cndmask_b32_e64 v28, v28, v125, s[60:61]                 // 00000000B330: D100001C 00F2FB1C
	s_lshl_b32 s60, s60, 1                                     // 00000000B338: 8E3C813C
	s_lshl_b32 s61, s61, 1                                     // 00000000B33C: 8E3D813D
	s_and_b32 s60, 0xfffeffff, s60                             // 00000000B340: 863C3CFF FFFEFFFF
	s_and_b32 s61, 0xfffeffff, s61                             // 00000000B348: 863D3DFF FFFEFFFF
	v_cndmask_b32_e64 v29, v29, v125, s[60:61]                 // 00000000B350: D100001D 00F2FB1D
	s_lshl_b32 s60, s60, 1                                     // 00000000B358: 8E3C813C
	s_lshl_b32 s61, s61, 1                                     // 00000000B35C: 8E3D813D
	s_and_b32 s60, 0xfffeffff, s60                             // 00000000B360: 863C3CFF FFFEFFFF
	s_and_b32 s61, 0xfffeffff, s61                             // 00000000B368: 863D3DFF FFFEFFFF
	v_cndmask_b32_e64 v30, v30, v125, s[60:61]                 // 00000000B370: D100001E 00F2FB1E
	s_lshl_b32 s60, s60, 1                                     // 00000000B378: 8E3C813C
	s_lshl_b32 s61, s61, 1                                     // 00000000B37C: 8E3D813D
	s_and_b32 s60, 0xfffeffff, s60                             // 00000000B380: 863C3CFF FFFEFFFF
	s_and_b32 s61, 0xfffeffff, s61                             // 00000000B388: 863D3DFF FFFEFFFF
	v_cndmask_b32_e64 v31, v31, v125, s[60:61]                 // 00000000B390: D100001F 00F2FB1F
	s_branch label_1D2A                                        // 00000000B398: BF820020

000000000000b39c <label_1D0A>:
	v_mov_b32_e32 v28, v125                                    // 00000000B39C: 7E38037D
	v_mov_b32_e32 v29, v125                                    // 00000000B3A0: 7E3A037D
	v_mov_b32_e32 v30, v125                                    // 00000000B3A4: 7E3C037D
	v_mov_b32_e32 v31, v125                                    // 00000000B3A8: 7E3E037D
	s_branch label_1D2A                                        // 00000000B3AC: BF82001B

000000000000b3b0 <label_1D0F>:
	v_cndmask_b32_e64 v32, v32, v125, s[60:61]                 // 00000000B3B0: D1000020 00F2FB20
	s_lshl_b32 s60, s60, 1                                     // 00000000B3B8: 8E3C813C
	s_lshl_b32 s61, s61, 1                                     // 00000000B3BC: 8E3D813D
	s_and_b32 s60, 0xfffeffff, s60                             // 00000000B3C0: 863C3CFF FFFEFFFF
	s_and_b32 s61, 0xfffeffff, s61                             // 00000000B3C8: 863D3DFF FFFEFFFF
	v_cndmask_b32_e64 v33, v33, v125, s[60:61]                 // 00000000B3D0: D1000021 00F2FB21
	s_lshl_b32 s60, s60, 1                                     // 00000000B3D8: 8E3C813C
	s_lshl_b32 s61, s61, 1                                     // 00000000B3DC: 8E3D813D
	s_and_b32 s60, 0xfffeffff, s60                             // 00000000B3E0: 863C3CFF FFFEFFFF
	s_and_b32 s61, 0xfffeffff, s61                             // 00000000B3E8: 863D3DFF FFFEFFFF
	v_cndmask_b32_e64 v34, v34, v125, s[60:61]                 // 00000000B3F0: D1000022 00F2FB22
	s_lshl_b32 s60, s60, 1                                     // 00000000B3F8: 8E3C813C
	s_lshl_b32 s61, s61, 1                                     // 00000000B3FC: 8E3D813D
	s_and_b32 s60, 0xfffeffff, s60                             // 00000000B400: 863C3CFF FFFEFFFF
	s_and_b32 s61, 0xfffeffff, s61                             // 00000000B408: 863D3DFF FFFEFFFF
	v_cndmask_b32_e64 v35, v35, v125, s[60:61]                 // 00000000B410: D1000023 00F2FB23
	s_branch label_1D4A                                        // 00000000B418: BF820020

000000000000b41c <label_1D2A>:
	v_mov_b32_e32 v32, v125                                    // 00000000B41C: 7E40037D
	v_mov_b32_e32 v33, v125                                    // 00000000B420: 7E42037D
	v_mov_b32_e32 v34, v125                                    // 00000000B424: 7E44037D
	v_mov_b32_e32 v35, v125                                    // 00000000B428: 7E46037D
	s_branch label_1D4A                                        // 00000000B42C: BF82001B

000000000000b430 <label_1D2F>:
	v_cndmask_b32_e64 v36, v36, v125, s[60:61]                 // 00000000B430: D1000024 00F2FB24
	s_lshl_b32 s60, s60, 1                                     // 00000000B438: 8E3C813C
	s_lshl_b32 s61, s61, 1                                     // 00000000B43C: 8E3D813D
	s_and_b32 s60, 0xfffeffff, s60                             // 00000000B440: 863C3CFF FFFEFFFF
	s_and_b32 s61, 0xfffeffff, s61                             // 00000000B448: 863D3DFF FFFEFFFF
	v_cndmask_b32_e64 v37, v37, v125, s[60:61]                 // 00000000B450: D1000025 00F2FB25
	s_lshl_b32 s60, s60, 1                                     // 00000000B458: 8E3C813C
	s_lshl_b32 s61, s61, 1                                     // 00000000B45C: 8E3D813D
	s_and_b32 s60, 0xfffeffff, s60                             // 00000000B460: 863C3CFF FFFEFFFF
	s_and_b32 s61, 0xfffeffff, s61                             // 00000000B468: 863D3DFF FFFEFFFF
	v_cndmask_b32_e64 v38, v38, v125, s[60:61]                 // 00000000B470: D1000026 00F2FB26
	s_lshl_b32 s60, s60, 1                                     // 00000000B478: 8E3C813C
	s_lshl_b32 s61, s61, 1                                     // 00000000B47C: 8E3D813D
	s_and_b32 s60, 0xfffeffff, s60                             // 00000000B480: 863C3CFF FFFEFFFF
	s_and_b32 s61, 0xfffeffff, s61                             // 00000000B488: 863D3DFF FFFEFFFF
	v_cndmask_b32_e64 v39, v39, v125, s[60:61]                 // 00000000B490: D1000027 00F2FB27
	s_branch label_1D4F                                        // 00000000B498: BF820005

000000000000b49c <label_1D4A>:
	v_mov_b32_e32 v36, v125                                    // 00000000B49C: 7E48037D
	v_mov_b32_e32 v37, v125                                    // 00000000B4A0: 7E4A037D
	v_mov_b32_e32 v38, v125                                    // 00000000B4A4: 7E4C037D
	v_mov_b32_e32 v39, v125                                    // 00000000B4A8: 7E4E037D
	s_branch label_1D4F                                        // 00000000B4AC: BF820000

000000000000b4b0 <label_1D4F>:
	s_cmp_lt_i32 s99, 0x100                                    // 00000000B4B0: BF04FF63 00000100
	s_cbranch_scc0 label_1DC0                                  // 00000000B4B8: BF840069
	s_cmp_le_i32 s99, 64                                       // 00000000B4BC: BF05C063
	s_cbranch_scc1 label_1D5E                                  // 00000000B4C0: BF85000A
	s_cmp_le_i32 s99, 0x80                                     // 00000000B4C4: BF05FF63 00000080
	s_cbranch_scc1 label_1D76                                  // 00000000B4CC: BF85001A
	s_cmp_lt_i32 s99, 0xc0                                     // 00000000B4D0: BF04FF63 000000C0
	s_cbranch_scc1 label_1D8E                                  // 00000000B4D8: BF85002F
	s_cmp_lt_i32 s99, 0x100                                    // 00000000B4DC: BF04FF63 00000100
	s_cbranch_scc1 label_1DA7                                  // 00000000B4E4: BF850045
	s_branch label_1DC0                                        // 00000000B4E8: BF82005D

000000000000b4ec <label_1D5E>:
	s_mov_b32 s60, 0                                           // 00000000B4EC: BEBC0080
	v_and_b32_e32 v20, 15, v0                                  // 00000000B4F0: 2628008F
	v_add_u32_e64 v20, v20, s60                                // 00000000B4F4: D1340014 00007914
	v_mul_i32_i24_e64 v21, s46, 16                             // 00000000B4FC: D1060015 0001202E
	v_add_u32_e32 v20, v20, v21                                // 00000000B504: 68282B14
	v_cmp_lt_u32_e64 s[60:61], v20, s99                        // 00000000B508: D0C9003C 0000C714
	s_nop 1                                                    // 00000000B510: BF800001
	v_cndmask_b32_e64 v24, v125, v24, s[60:61]                 // 00000000B514: D1000018 00F2317D
	v_cndmask_b32_e64 v25, v125, v25, s[60:61]                 // 00000000B51C: D1000019 00F2337D
	v_cndmask_b32_e64 v26, v125, v26, s[60:61]                 // 00000000B524: D100001A 00F2357D
	v_cndmask_b32_e64 v27, v125, v27, s[60:61]                 // 00000000B52C: D100001B 00F2377D
	s_branch label_1D89                                        // 00000000B534: BF820013

000000000000b538 <label_1D76>:
	s_mov_b32 s60, 64                                          // 00000000B538: BEBC00C0
	v_and_b32_e32 v20, 15, v0                                  // 00000000B53C: 2628008F
	v_add_u32_e64 v20, v20, s60                                // 00000000B540: D1340014 00007914
	v_mul_i32_i24_e64 v21, s46, 16                             // 00000000B548: D1060015 0001202E
	v_add_u32_e32 v20, v20, v21                                // 00000000B550: 68282B14
	v_cmp_lt_u32_e64 s[60:61], v20, s99                        // 00000000B554: D0C9003C 0000C714
	s_nop 1                                                    // 00000000B55C: BF800001
	v_cndmask_b32_e64 v28, v125, v28, s[60:61]                 // 00000000B560: D100001C 00F2397D
	v_cndmask_b32_e64 v29, v125, v29, s[60:61]                 // 00000000B568: D100001D 00F23B7D
	v_cndmask_b32_e64 v30, v125, v30, s[60:61]                 // 00000000B570: D100001E 00F23D7D
	v_cndmask_b32_e64 v31, v125, v31, s[60:61]                 // 00000000B578: D100001F 00F23F7D
	s_branch label_1DA2                                        // 00000000B580: BF820019

000000000000b584 <label_1D89>:
	v_mov_b32_e32 v28, v125                                    // 00000000B584: 7E38037D
	v_mov_b32_e32 v29, v125                                    // 00000000B588: 7E3A037D
	v_mov_b32_e32 v30, v125                                    // 00000000B58C: 7E3C037D
	v_mov_b32_e32 v31, v125                                    // 00000000B590: 7E3E037D
	s_branch label_1DA2                                        // 00000000B594: BF820014

000000000000b598 <label_1D8E>:
	s_mov_b32 s60, 0x80                                        // 00000000B598: BEBC00FF 00000080
	v_and_b32_e32 v20, 15, v0                                  // 00000000B5A0: 2628008F
	v_add_u32_e64 v20, v20, s60                                // 00000000B5A4: D1340014 00007914
	v_mul_i32_i24_e64 v21, s46, 16                             // 00000000B5AC: D1060015 0001202E
	v_add_u32_e32 v20, v20, v21                                // 00000000B5B4: 68282B14
	v_cmp_lt_u32_e64 s[60:61], v20, s99                        // 00000000B5B8: D0C9003C 0000C714
	s_nop 1                                                    // 00000000B5C0: BF800001
	v_cndmask_b32_e64 v32, v125, v32, s[60:61]                 // 00000000B5C4: D1000020 00F2417D
	v_cndmask_b32_e64 v33, v125, v33, s[60:61]                 // 00000000B5CC: D1000021 00F2437D
	v_cndmask_b32_e64 v34, v125, v34, s[60:61]                 // 00000000B5D4: D1000022 00F2457D
	v_cndmask_b32_e64 v35, v125, v35, s[60:61]                 // 00000000B5DC: D1000023 00F2477D
	s_branch label_1DBB                                        // 00000000B5E4: BF820019

000000000000b5e8 <label_1DA2>:
	v_mov_b32_e32 v32, v125                                    // 00000000B5E8: 7E40037D
	v_mov_b32_e32 v33, v125                                    // 00000000B5EC: 7E42037D
	v_mov_b32_e32 v34, v125                                    // 00000000B5F0: 7E44037D
	v_mov_b32_e32 v35, v125                                    // 00000000B5F4: 7E46037D
	s_branch label_1DBB                                        // 00000000B5F8: BF820014

000000000000b5fc <label_1DA7>:
	s_mov_b32 s60, 0xc0                                        // 00000000B5FC: BEBC00FF 000000C0
	v_and_b32_e32 v20, 15, v0                                  // 00000000B604: 2628008F
	v_add_u32_e64 v20, v20, s60                                // 00000000B608: D1340014 00007914
	v_mul_i32_i24_e64 v21, s46, 16                             // 00000000B610: D1060015 0001202E
	v_add_u32_e32 v20, v20, v21                                // 00000000B618: 68282B14
	v_cmp_lt_u32_e64 s[60:61], v20, s99                        // 00000000B61C: D0C9003C 0000C714
	s_nop 1                                                    // 00000000B624: BF800001
	v_cndmask_b32_e64 v36, v125, v36, s[60:61]                 // 00000000B628: D1000024 00F2497D
	v_cndmask_b32_e64 v37, v125, v37, s[60:61]                 // 00000000B630: D1000025 00F24B7D
	v_cndmask_b32_e64 v38, v125, v38, s[60:61]                 // 00000000B638: D1000026 00F24D7D
	v_cndmask_b32_e64 v39, v125, v39, s[60:61]                 // 00000000B640: D1000027 00F24F7D
	s_branch label_1DC0                                        // 00000000B648: BF820005

000000000000b64c <label_1DBB>:
	v_mov_b32_e32 v36, v125                                    // 00000000B64C: 7E48037D
	v_mov_b32_e32 v37, v125                                    // 00000000B650: 7E4A037D
	v_mov_b32_e32 v38, v125                                    // 00000000B654: 7E4C037D
	v_mov_b32_e32 v39, v125                                    // 00000000B658: 7E4E037D
	s_branch label_1DC0                                        // 00000000B65C: BF820000

000000000000b660 <label_1DC0>:
	s_addk_i32 s74, 0x1                                        // 00000000B660: B74A0001
	s_waitcnt lgkmcnt(8)                                       // 00000000B664: BF8CC87F
	v_mfma_f32_16x16x32_f16 v[56:59], v[72:75], a[48:51], 0    // 00000000B668: D3D40038 12026148
	v_exp_f32_e32 v24, v24                                     // 00000000B670: 7E304118
	v_exp_f32_e32 v25, v25                                     // 00000000B674: 7E324119
	v_mfma_f32_16x16x32_f16 v[56:59], v[76:79], a[52:55], v[56:59]// 00000000B678: D3D40038 14E2694C
	v_exp_f32_e32 v26, v26                                     // 00000000B680: 7E34411A
	v_exp_f32_e32 v27, v27                                     // 00000000B684: 7E36411B
	v_mfma_f32_16x16x32_f16 v[56:59], v[80:83], a[56:59], v[56:59]// 00000000B688: D3D40038 14E27150
	v_fma_f32 v36, v36, s57, -v104                             // 00000000B690: D1CB0024 85A07324
	v_fma_f32 v37, v37, s57, -v105                             // 00000000B698: D1CB0025 85A47325
	v_exp_f32_e32 v28, v28                                     // 00000000B6A0: 7E38411C
	v_exp_f32_e32 v29, v29                                     // 00000000B6A4: 7E3A411D
	v_mfma_f32_16x16x32_f16 v[56:59], v[84:87], a[60:63], v[56:59]// 00000000B6A8: D3D40038 14E27954
	ds_read_b64_tr_b16 a[112:113], v10 offset:12288            // 00000000B6B0: DBC63000 7000000A
	ds_read_b64_tr_b16 a[114:115], v10 offset:12544            // 00000000B6B8: DBC63100 7200000A
	v_mfma_f32_16x16x32_f16 v[60:63], v[72:75], a[64:67], 0    // 00000000B6C0: D3D4003C 12028148
	v_fma_f32 v38, v38, s57, -v106                             // 00000000B6C8: D1CB0026 85A87326
	v_fma_f32 v39, v39, s57, -v107                             // 00000000B6D0: D1CB0027 85AC7327
	v_exp_f32_e32 v30, v30                                     // 00000000B6D8: 7E3C411E
	v_exp_f32_e32 v31, v31                                     // 00000000B6DC: 7E3E411F
	v_mfma_f32_16x16x32_f16 v[60:63], v[76:79], a[68:71], v[60:63]// 00000000B6E0: D3D4003C 14F2894C
	ds_read_b64_tr_b16 a[116:117], v10 offset:13312            // 00000000B6E8: DBC63400 7400000A
	ds_read_b64_tr_b16 a[118:119], v10 offset:13568            // 00000000B6F0: DBC63500 7600000A
	v_mfma_f32_16x16x32_f16 v[60:63], v[80:83], a[72:75], v[60:63]// 00000000B6F8: D3D4003C 14F29150
	v_exp_f32_e32 v32, v32                                     // 00000000B700: 7E404120
	v_exp_f32_e32 v33, v33                                     // 00000000B704: 7E424121
	v_mfma_f32_16x16x32_f16 v[60:63], v[84:87], a[76:79], v[60:63]// 00000000B708: D3D4003C 14F29954
	v_cvt_pk_f16_f32 v116, v24, v25                            // 00000000B710: D2670074 00023318
	v_cvt_pk_f16_f32 v117, v26, v27                            // 00000000B718: D2670075 0002371A
	v_exp_f32_e32 v34, v34                                     // 00000000B720: 7E444122
	v_mfma_f32_16x16x32_f16 v[64:67], v[72:75], a[80:83], 0    // 00000000B724: D3D40040 1202A148
	v_exp_f32_e32 v35, v35                                     // 00000000B72C: 7E464123
	v_exp_f32_e32 v36, v36                                     // 00000000B730: 7E484124
	v_mfma_f32_16x16x32_f16 v[64:67], v[76:79], a[84:87], v[64:67]// 00000000B734: D3D40040 1502A94C
	v_cvt_pk_f16_f32 v118, v28, v29                            // 00000000B73C: D2670076 00023B1C
	v_cvt_pk_f16_f32 v119, v30, v31                            // 00000000B744: D2670077 00023F1E
	v_exp_f32_e32 v37, v37                                     // 00000000B74C: 7E4A4125
	v_mfma_f32_16x16x32_f16 v[64:67], v[80:83], a[88:91], v[64:67]// 00000000B750: D3D40040 1502B150
	v_exp_f32_e32 v38, v38                                     // 00000000B758: 7E4C4126
	v_exp_f32_e32 v39, v39                                     // 00000000B75C: 7E4E4127
	v_permlane16_swap_b32_e32 v116, v118                       // 00000000B760: 7EE8B376
	v_mfma_f32_16x16x32_f16 v[64:67], v[84:87], a[92:95], v[64:67]// 00000000B764: D3D40040 1502B954
	ds_read_b64_tr_b16 a[120:121], v10 offset:14336            // 00000000B76C: DBC63800 7800000A
	ds_read_b64_tr_b16 a[122:123], v10 offset:14592            // 00000000B774: DBC63900 7A00000A
	v_mfma_f32_16x16x32_f16 v[68:71], v[72:75], a[96:99], 0    // 00000000B77C: D3D40044 1202C148
	v_cvt_pk_f16_f32 v120, v32, v33                            // 00000000B784: D2670078 00024320
	v_cvt_pk_f16_f32 v121, v34, v35                            // 00000000B78C: D2670079 00024722
	v_cvt_pk_f16_f32 v122, v36, v37                            // 00000000B794: D267007A 00024B24
	v_cvt_pk_f16_f32 v123, v38, v39                            // 00000000B79C: D267007B 00024F26
	v_permlane16_swap_b32_e32 v117, v119                       // 00000000B7A4: 7EEAB377
	v_mfma_f32_16x16x32_f16 v[68:71], v[76:79], a[100:103], v[68:71]// 00000000B7A8: D3D40044 1512C94C
	ds_read_b64_tr_b16 a[124:125], v10 offset:15360            // 00000000B7B0: DBC63C00 7C00000A
	ds_read_b64_tr_b16 a[126:127], v10 offset:15616            // 00000000B7B8: DBC63D00 7E00000A
	v_mfma_f32_16x16x32_f16 v[68:71], v[80:83], a[104:107], v[68:71]// 00000000B7C0: D3D40044 1512D150
	v_permlane16_swap_b32_e32 v120, v122                       // 00000000B7C8: 7EF0B37A
	v_mfma_f32_16x16x32_f16 v[68:71], v[84:87], a[108:111], v[68:71]// 00000000B7CC: D3D40044 1512D954
	v_permlane16_swap_b32_e32 v121, v123                       // 00000000B7D4: 7EF2B37B
	s_waitcnt lgkmcnt(8)                                       // 00000000B7D8: BF8CC87F
	v_mfma_f32_32x32x16_f16 v[126:141], v[88:91], v[116:119], v[126:141]// 00000000B7DC: D3D5007E 05FAE958
	v_subrev_f32_dpp v56, v124, v56 quad_perm:[0,0,0,0] row_mask:0xf bank_mask:0xf// 00000000B7E4: 067070FA FF00007C
	v_subrev_f32_dpp v57, v124, v57 quad_perm:[1,1,1,1] row_mask:0xf bank_mask:0xf// 00000000B7EC: 067272FA FF00557C
	v_subrev_f32_dpp v58, v124, v58 quad_perm:[2,2,2,2] row_mask:0xf bank_mask:0xf// 00000000B7F4: 067474FA FF00AA7C
	v_subrev_f32_dpp v59, v124, v59 quad_perm:[3,3,3,3] row_mask:0xf bank_mask:0xf// 00000000B7FC: 067676FA FF00FF7C
	v_subrev_f32_dpp v60, v124, v60 quad_perm:[0,0,0,0] row_mask:0xf bank_mask:0xf// 00000000B804: 067878FA FF00007C
	v_subrev_f32_dpp v61, v124, v61 quad_perm:[1,1,1,1] row_mask:0xf bank_mask:0xf// 00000000B80C: 067A7AFA FF00557C
	v_subrev_f32_dpp v62, v124, v62 quad_perm:[2,2,2,2] row_mask:0xf bank_mask:0xf// 00000000B814: 067C7CFA FF00AA7C
	v_subrev_f32_dpp v63, v124, v63 quad_perm:[3,3,3,3] row_mask:0xf bank_mask:0xf// 00000000B81C: 067E7EFA FF00FF7C
	v_mul_f32_e32 v56, v24, v56                                // 00000000B824: 0A707118
	v_mul_f32_e32 v57, v25, v57                                // 00000000B828: 0A727319
	v_mfma_f32_32x32x16_f16 v[142:157], v[92:95], v[116:119], v[142:157]// 00000000B82C: D3D5008E 063AE95C
	ds_read_b64_tr_b16 a[0:1], v15                             // 00000000B834: DBC60000 0000000F
	ds_read_b64_tr_b16 a[2:3], v15 offset:256                  // 00000000B83C: DBC60100 0200000F
	ds_read_b64_tr_b16 a[4:5], v16                             // 00000000B844: DBC60000 04000010
	ds_read_b64_tr_b16 a[6:7], v16 offset:256                  // 00000000B84C: DBC60100 06000010
	buffer_atomic_pk_add_f16 v108, v4, s[32:35], 0 offen       // 00000000B854: E1381000 80086C04
	v_mfma_f32_32x32x16_f16 v[158:173], v[96:99], v[116:119], v[158:173]// 00000000B85C: D3D5009E 067AE960
	v_mul_f32_e32 v58, v26, v58                                // 00000000B864: 0A74751A
	v_mul_f32_e32 v59, v27, v59                                // 00000000B868: 0A76771B
	v_mul_f32_e32 v60, v28, v60                                // 00000000B86C: 0A78791C
	v_mul_f32_e32 v61, v29, v61                                // 00000000B870: 0A7A7B1D
	v_mul_f32_e32 v62, v30, v62                                // 00000000B874: 0A7C7D1E
	v_mul_f32_e32 v63, v31, v63                                // 00000000B878: 0A7E7F1F
	v_cvt_pk_f16_f32 v56, v56, v57                             // 00000000B87C: D2670038 00027338
	v_cvt_pk_f16_f32 v57, v58, v59                             // 00000000B884: D2670039 0002773A
	v_cvt_pk_f16_f32 v58, v60, v61                             // 00000000B88C: D267003A 00027B3C
	v_cvt_pk_f16_f32 v59, v62, v63                             // 00000000B894: D267003B 00027F3E
	v_subrev_f32_dpp v64, v124, v64 quad_perm:[0,0,0,0] row_mask:0xf bank_mask:0xf// 00000000B89C: 068080FA FF00007C
	v_subrev_f32_dpp v65, v124, v65 quad_perm:[1,1,1,1] row_mask:0xf bank_mask:0xf// 00000000B8A4: 068282FA FF00557C
	v_subrev_f32_dpp v66, v124, v66 quad_perm:[2,2,2,2] row_mask:0xf bank_mask:0xf// 00000000B8AC: 068484FA FF00AA7C
	v_subrev_f32_dpp v67, v124, v67 quad_perm:[3,3,3,3] row_mask:0xf bank_mask:0xf// 00000000B8B4: 068686FA FF00FF7C
	v_mfma_f32_32x32x16_f16 v[174:189], v[100:103], v[116:119], v[174:189]// 00000000B8BC: D3D500AE 06BAE964
	ds_read_b64_tr_b16 a[8:9], v15 offset:8192                 // 00000000B8C4: DBC62000 0800000F
	ds_read_b64_tr_b16 a[10:11], v15 offset:8448               // 00000000B8CC: DBC62100 0A00000F
	ds_read_b64_tr_b16 a[12:13], v16 offset:8192               // 00000000B8D4: DBC62000 0C000010
	ds_read_b64_tr_b16 a[14:15], v16 offset:8448               // 00000000B8DC: DBC62100 0E000010
	v_mfma_f32_32x32x16_f16 v[190:205], v[88:91], v[120:123], v[190:205]// 00000000B8E4: D3D500BE 06FAF158
	v_subrev_f32_dpp v68, v124, v68 quad_perm:[0,0,0,0] row_mask:0xf bank_mask:0xf// 00000000B8EC: 068888FA FF00007C
	v_subrev_f32_dpp v69, v124, v69 quad_perm:[1,1,1,1] row_mask:0xf bank_mask:0xf// 00000000B8F4: 068A8AFA FF00557C
	v_subrev_f32_dpp v70, v124, v70 quad_perm:[2,2,2,2] row_mask:0xf bank_mask:0xf// 00000000B8FC: 068C8CFA FF00AA7C
	v_subrev_f32_dpp v71, v124, v71 quad_perm:[3,3,3,3] row_mask:0xf bank_mask:0xf// 00000000B904: 068E8EFA FF00FF7C
	v_mul_f32_e32 v64, v32, v64                                // 00000000B90C: 0A808120
	v_mul_f32_e32 v65, v33, v65                                // 00000000B910: 0A828321
	v_mul_f32_e32 v66, v34, v66                                // 00000000B914: 0A848522
	v_mul_f32_e32 v67, v35, v67                                // 00000000B918: 0A868723
	v_mul_f32_e32 v68, v36, v68                                // 00000000B91C: 0A888924
	v_mul_f32_e32 v69, v37, v69                                // 00000000B920: 0A8A8B25
	v_mul_f32_e32 v70, v38, v70                                // 00000000B924: 0A8C8D26
	v_mul_f32_e32 v71, v39, v71                                // 00000000B928: 0A8E8F27
	v_cvt_pk_f16_f32 v60, v64, v65                             // 00000000B92C: D267003C 00028340
	v_cvt_pk_f16_f32 v61, v66, v67                             // 00000000B934: D267003D 00028742
	v_cvt_pk_f16_f32 v62, v68, v69                             // 00000000B93C: D267003E 00028B44
	v_cvt_pk_f16_f32 v63, v70, v71                             // 00000000B944: D267003F 00028F46
	v_mfma_f32_32x32x16_f16 v[206:221], v[92:95], v[120:123], v[206:221]// 00000000B94C: D3D500CE 073AF15C
	ds_read_b64_tr_b16 a[16:17], v15 offset:16384              // 00000000B954: DBC64000 1000000F
	ds_read_b64_tr_b16 a[18:19], v15 offset:16640              // 00000000B95C: DBC64100 1200000F
	ds_write_b64 v12, v[56:57] offset:32768                    // 00000000B964: D89A8000 0000380C
	ds_write_b64 v12, v[58:59] offset:35072                    // 00000000B96C: D89A8900 00003A0C
	buffer_atomic_pk_add_f16 v109, v5, s[32:35], 0 offen       // 00000000B974: E1381000 80086D05
	v_mfma_f32_32x32x16_f16 v[222:237], v[96:99], v[120:123], v[222:237]// 00000000B97C: D3D500DE 077AF160
	v_permlane16_swap_b32_e32 v56, v58                         // 00000000B984: 7E70B33A
	v_permlane16_swap_b32_e32 v57, v59                         // 00000000B988: 7E72B33B
	s_nop 1                                                    // 00000000B98C: BF800001
	v_mfma_f32_32x32x16_f16 v[238:253], v[100:103], v[120:123], v[238:253]// 00000000B990: D3D500EE 07BAF164
	ds_read_b32 v104, v13 offset:41984                         // 00000000B998: D86CA400 6800000D
	ds_read_b32 v124, v13 offset:42240                         // 00000000B9A0: D86CA500 7C00000D
	ds_write_b64 v12, v[60:61] offset:37376                    // 00000000B9A8: D89A9200 00003C0C
	ds_write_b64 v12, v[62:63] offset:39680                    // 00000000B9B0: D89A9B00 00003E0C
	s_waitcnt lgkmcnt(12)                                      // 00000000B9B8: BF8CCC7F
	v_mfma_f32_32x32x16_f16 a[128:143], a[112:115], v[56:59], a[128:143]// 00000000B9BC: D3D58080 0E027170
	v_permlane16_swap_b32_e32 v60, v62                         // 00000000B9C4: 7E78B33E
	buffer_atomic_pk_add_f16 v110, v6, s[32:35], 0 offen       // 00000000B9C8: E1381000 80086E06
	v_mfma_f32_32x32x16_f16 a[144:159], a[116:119], v[56:59], a[144:159]// 00000000B9D0: D3D58090 0E427174
	ds_read_b64_tr_b16 a[20:21], v16 offset:16384              // 00000000B9D8: DBC64000 14000010
	ds_read_b64_tr_b16 a[22:23], v16 offset:16640              // 00000000B9E0: DBC64100 16000010
	ds_read_b64_tr_b16 a[24:25], v15 offset:24576              // 00000000B9E8: DBC66000 1800000F
	ds_read_b64_tr_b16 a[26:27], v15 offset:24832              // 00000000B9F0: DBC66100 1A00000F
	ds_read_b64_tr_b16 a[28:29], v16 offset:24576              // 00000000B9F8: DBC66000 1C000010
	ds_read_b64_tr_b16 a[30:31], v16 offset:24832              // 00000000BA00: DBC66100 1E000010
	ds_read_b64_tr_b16 a[32:33], v15 offset:32768              // 00000000BA08: DBC68000 2000000F
	ds_read_b64_tr_b16 a[34:35], v15 offset:33024              // 00000000BA10: DBC68100 2200000F
	s_waitcnt lgkmcnt(8)                                       // 00000000BA18: BF8CC87F
	s_barrier                                                  // 00000000BA1C: BF8A0000
	v_mfma_f32_32x32x16_f16 a[160:175], a[120:123], v[56:59], a[160:175]// 00000000BA20: D3D580A0 0E827178
	v_permlane16_swap_b32_e32 v61, v63                         // 00000000BA28: 7E7AB33F
	v_mul_f32_e32 v104, s48, v104                              // 00000000BA2C: 0AD0D030
	v_mfma_f32_32x32x16_f16 a[176:191], a[124:127], v[56:59], a[176:191]// 00000000BA30: D3D580B0 0EC2717C
	ds_read_b64_tr_b16 v[24:25], v11 offset:32768              // 00000000BA38: D9C68000 1800000B
	ds_read_b64_tr_b16 v[26:27], v11 offset:32800              // 00000000BA40: D9C68020 1A00000B
	ds_read_b64_tr_b16 v[28:29], v11 offset:33920              // 00000000BA48: D9C68480 1C00000B
	ds_read_b64_tr_b16 v[30:31], v11 offset:33952              // 00000000BA50: D9C684A0 1E00000B
	ds_read_b64_tr_b16 v[32:33], v11 offset:35072              // 00000000BA58: D9C68900 2000000B
	ds_read_b64_tr_b16 v[34:35], v11 offset:35104              // 00000000BA60: D9C68920 2200000B
	ds_read_b64_tr_b16 v[36:37], v11 offset:36224              // 00000000BA68: D9C68D80 2400000B
	ds_read_b64_tr_b16 v[38:39], v11 offset:36256              // 00000000BA70: D9C68DA0 2600000B
	v_mfma_f32_32x32x16_f16 a[192:207], a[112:115], v[60:63], a[192:207]// 00000000BA78: D3D580C0 0F027970
	v_mov_b32_dpp v107, v104 quad_perm:[3,3,3,3] row_mask:0xf bank_mask:0xf// 00000000BA80: 7ED602FA FF00FF68
	v_mov_b32_dpp v106, v104 quad_perm:[2,2,2,2] row_mask:0xf bank_mask:0xf// 00000000BA88: 7ED402FA FF00AA68
	buffer_atomic_pk_add_f16 v111, v7, s[32:35], 0 offen       // 00000000BA90: E1381000 80086F07
	v_mfma_f32_32x32x16_f16 a[208:223], a[116:119], v[60:63], a[208:223]// 00000000BA98: D3D580D0 0F427974
	ds_read_b64_tr_b16 v[40:41], v11 offset:37376              // 00000000BAA0: D9C69200 2800000B
	ds_read_b64_tr_b16 v[42:43], v11 offset:37408              // 00000000BAA8: D9C69220 2A00000B
	ds_read_b64_tr_b16 v[44:45], v11 offset:38528              // 00000000BAB0: D9C69680 2C00000B
	ds_read_b64_tr_b16 v[46:47], v11 offset:38560              // 00000000BAB8: D9C696A0 2E00000B
	ds_read_b64_tr_b16 a[36:37], v16 offset:32768              // 00000000BAC0: DBC68000 24000010
	ds_read_b64_tr_b16 a[38:39], v16 offset:33024              // 00000000BAC8: DBC68100 26000010
	ds_read_b64_tr_b16 a[40:41], v15 offset:40960              // 00000000BAD0: DBC6A000 2800000F
	ds_read_b64_tr_b16 a[42:43], v15 offset:41216              // 00000000BAD8: DBC6A100 2A00000F
	v_mfma_f32_32x32x16_f16 a[224:239], a[120:123], v[60:63], a[224:239]// 00000000BAE0: D3D580E0 0F827978
	v_mov_b32_dpp v105, v104 quad_perm:[1,1,1,1] row_mask:0xf bank_mask:0xf// 00000000BAE8: 7ED202FA FF005568
	v_mov_b32_dpp v104, v104 quad_perm:[0,0,0,0] row_mask:0xf bank_mask:0xf// 00000000BAF0: 7ED002FA FF000068
	v_mfma_f32_32x32x16_f16 a[240:255], a[124:127], v[60:63], a[240:255]// 00000000BAF8: D3D580F0 0FC2797C
	ds_read_b64_tr_b16 v[48:49], v11 offset:39680              // 00000000BB00: D9C69B00 3000000B
	ds_read_b64_tr_b16 v[50:51], v11 offset:39712              // 00000000BB08: D9C69B20 3200000B
	ds_read_b64_tr_b16 v[52:53], v11 offset:40832              // 00000000BB10: D9C69F80 3400000B
	ds_read_b64_tr_b16 v[54:55], v11 offset:40864              // 00000000BB18: D9C69FA0 3600000B
	ds_read_b64_tr_b16 a[44:45], v16 offset:40960              // 00000000BB20: DBC6A000 2C000010
	ds_read_b64_tr_b16 a[46:47], v16 offset:41216              // 00000000BB28: DBC6A100 2E000010
	s_waitcnt vmcnt(4) lgkmcnt(6)                              // 00000000BB30: BF8C0674
	s_barrier                                                  // 00000000BB34: BF8A0000
	v_mfma_f32_16x16x32_f16 v[108:111], a[0:3], v[24:27], 0    // 00000000BB38: D3D4006C 0A023100
	s_mov_b32 m0, s84                                          // 00000000BB40: BEFC0054
	buffer_load_dwordx4 v1, s[8:11], 0 idxen lds               // 00000000BB44: E05D2000 80020001
	v_mfma_f32_16x16x32_f16 v[108:111], a[8:11], v[28:31], v[108:111]// 00000000BB4C: D3D4006C 0DB23908
	ds_read_b64_tr_b16 v[56:57], v15 offset:49152              // 00000000BB54: D9C6C000 3800000F
	ds_read_b64_tr_b16 v[58:59], v15 offset:49408              // 00000000BB5C: D9C6C100 3A00000F
	ds_read_b64_tr_b16 v[60:61], v16 offset:49152              // 00000000BB64: D9C6C000 3C000010
	ds_read_b64_tr_b16 v[62:63], v16 offset:49408              // 00000000BB6C: D9C6C100 3E000010
	v_mfma_f32_16x16x32_f16 v[108:111], a[16:19], v[32:35], v[108:111]// 00000000BB74: D3D4006C 0DB24110
	s_mov_b32 m0, s88                                          // 00000000BB7C: BEFC0058
	buffer_load_dwordx4 v254, s[20:23], 0 idxen lds            // 00000000BB80: E05D2000 800500FE
	v_mfma_f32_16x16x32_f16 v[108:111], a[24:27], v[36:39], v[108:111]// 00000000BB88: D3D4006C 0DB24918
	ds_read_b64_tr_b16 v[64:65], v15 offset:57344              // 00000000BB90: D9C6E000 4000000F
	ds_read_b64_tr_b16 v[66:67], v15 offset:57600              // 00000000BB98: D9C6E100 4200000F
	ds_read_b64_tr_b16 v[68:69], v16 offset:57344              // 00000000BBA0: D9C6E000 44000010
	ds_read_b64_tr_b16 v[70:71], v16 offset:57600              // 00000000BBA8: D9C6E100 46000010
	v_mfma_f32_16x16x32_f16 v[108:111], a[32:35], v[40:43], v[108:111]// 00000000BBB0: D3D4006C 0DB25120
	s_mov_b32 m0, s80                                          // 00000000BBB8: BEFC0050
	buffer_load_dword v8, s[24:27], 0 idxen lds                // 00000000BBBC: E0512000 80060008
	v_mfma_f32_16x16x32_f16 v[108:111], a[40:43], v[44:47], v[108:111]// 00000000BBC4: D3D4006C 0DB25928
	ds_read_b128 a[112:115], v9                                // 00000000BBCC: DBFE0000 70000009
	ds_read_b128 a[116:119], v9 offset:1024                    // 00000000BBD4: DBFE0400 74000009
	s_waitcnt lgkmcnt(4)                                       // 00000000BBDC: BF8CC47F
	s_barrier                                                  // 00000000BBE0: BF8A0000
	v_mfma_f32_16x16x32_f16 v[108:111], v[56:59], v[48:51], v[108:111]// 00000000BBE4: D3D4006C 05B26138
	s_add_u32 s60, 64, s59                                     // 00000000BBEC: 803C3BC0
	s_cmp_lt_u32 s60, s58                                      // 00000000BBF0: BF0A3A3C
	s_cselect_b32 s68, s68, 0                                  // 00000000BBF4: 85448044
	s_cselect_b32 s98, s98, 0                                  // 00000000BBF8: 85628062
	s_cselect_b32 s69, s69, 0                                  // 00000000BBFC: 85458045
	v_mfma_f32_16x16x32_f16 v[108:111], v[64:67], v[52:55], v[108:111]// 00000000BC00: D3D4006C 05B26940
	ds_read_b128 a[120:123], v9 offset:2048                    // 00000000BC08: DBFE0800 78000009
	ds_read_b128 a[124:127], v9 offset:3072                    // 00000000BC10: DBFE0C00 7C000009
	v_mfma_f32_16x16x32_f16 v[112:115], a[4:7], v[24:27], 0    // 00000000BC18: D3D40070 0A023104
	v_add_u32_e32 v1, s68, v1                                  // 00000000BC20: 68020244
	v_add_u32_e32 v254, s98, v254                              // 00000000BC24: 69FDFC62
	v_add_u32_e32 v8, s69, v8                                  // 00000000BC28: 68101045
	v_mfma_f32_16x16x32_f16 v[112:115], a[12:15], v[28:31], v[112:115]// 00000000BC2C: D3D40070 0DC2390C
	ds_read_b128 a[0:3], v14                                   // 00000000BC34: DBFE0000 0000000E
	ds_read_b128 a[4:7], v14 offset:1024                       // 00000000BC3C: DBFE0400 0400000E
	v_mfma_f32_16x16x32_f16 v[112:115], a[20:23], v[32:35], v[112:115]// 00000000BC44: D3D40070 0DC24114
	v_mul_f32_e32 v108, s47, v108                              // 00000000BC4C: 0AD8D82F
	v_mul_f32_e32 v109, s47, v109                              // 00000000BC50: 0ADADA2F
	v_mfma_f32_16x16x32_f16 v[112:115], a[28:31], v[36:39], v[112:115]// 00000000BC54: D3D40070 0DC2491C
	ds_read_b128 a[8:11], v14 offset:2048                      // 00000000BC5C: DBFE0800 0800000E
	ds_read_b128 a[12:15], v14 offset:3072                     // 00000000BC64: DBFE0C00 0C00000E
	v_mfma_f32_16x16x32_f16 v[112:115], a[36:39], v[40:43], v[112:115]// 00000000BC6C: D3D40070 0DC25124
	v_mul_f32_e32 v110, s47, v110                              // 00000000BC74: 0ADCDC2F
	s_cmp_ge_u32 s59, s73                                      // 00000000BC78: BF09493B
	s_cselect_b32 s66, s67, s66                                // 00000000BC7C: 85424243
	v_mfma_f32_16x16x32_f16 v[112:115], a[44:47], v[44:47], v[112:115]// 00000000BC80: D3D40070 0DC2592C
	ds_read_b128 a[16:19], v14 offset:16384                    // 00000000BC88: DBFE4000 1000000E
	ds_read_b128 a[20:23], v14 offset:17408                    // 00000000BC90: DBFE4400 1400000E
	s_waitcnt lgkmcnt(10)                                      // 00000000BC98: BF8CCA7F
	v_mfma_f32_16x16x32_f16 v[112:115], v[60:63], v[48:51], v[112:115]// 00000000BC9C: D3D40070 05C2613C
	s_addk_i32 s59, 0x10                                       // 00000000BCA4: B73B0010
	v_mul_f32_e32 v111, s47, v111                              // 00000000BCA8: 0ADEDE2F
	s_cmp_lt_i32 s59, s58                                      // 00000000BCAC: BF043A3B
	v_mfma_f32_16x16x32_f16 v[112:115], v[68:71], v[52:55], v[112:115]// 00000000BCB0: D3D40070 05C26944
	ds_read_b128 a[24:27], v14 offset:18432                    // 00000000BCB8: DBFE4800 1800000E
	ds_read_b128 a[28:31], v14 offset:19456                    // 00000000BCC0: DBFE4C00 1C00000E
	s_cbranch_scc0 label_12E0                                  // 00000000BCC8: BF84F399
	s_branch label_12E3                                        // 00000000BCCC: BF82F39B

000000000000bcd0 <label_1F5C>:
	v_lshlrev_b32_e32 v18, 1, v0                               // 00000000BCD0: 24240081
	s_mul_i32 s60, s46, 0x840                                  // 00000000BCD4: 923CFF2E 00000840
	v_add_u32_e32 v18, s60, v18                                // 00000000BCDC: 6824243C
	v_lshlrev_b32_e32 v18, 2, v18                              // 00000000BCE0: 24242482
	v_mul_f32_e32 v112, s47, v112                              // 00000000BCE4: 0AE0E02F
	v_mul_f32_e32 v113, s47, v113                              // 00000000BCE8: 0AE2E22F
	v_mul_f32_e32 v114, s47, v114                              // 00000000BCEC: 0AE4E42F
	v_mul_f32_e32 v115, s47, v115                              // 00000000BCF0: 0AE6E62F
	v_cvt_pk_f16_f32 v108, v108, v109                          // 00000000BCF4: D267006C 0002DB6C
	v_cvt_pk_f16_f32 v109, v110, v111                          // 00000000BCFC: D267006D 0002DF6E
	v_cvt_pk_f16_f32 v110, v112, v113                          // 00000000BD04: D267006E 0002E370
	v_cvt_pk_f16_f32 v111, v114, v115                          // 00000000BD0C: D267006F 0002E772
	v_add_u32_e32 v4, s66, v4                                  // 00000000BD14: 68080842
	v_add_u32_e32 v5, s66, v5                                  // 00000000BD18: 680A0A42
	v_add_u32_e32 v6, s66, v6                                  // 00000000BD1C: 680C0C42
	v_add_u32_e32 v7, s66, v7                                  // 00000000BD20: 680E0E42
	buffer_atomic_pk_add_f16 v108, v4, s[32:35], 0 offen       // 00000000BD24: E1381000 80086C04
	buffer_atomic_pk_add_f16 v109, v5, s[32:35], 0 offen       // 00000000BD2C: E1381000 80086D05
	buffer_atomic_pk_add_f16 v110, v6, s[32:35], 0 offen       // 00000000BD34: E1381000 80086E06
	buffer_atomic_pk_add_f16 v111, v7, s[32:35], 0 offen       // 00000000BD3C: E1381000 80086F07
	v_and_b32_e32 v20, 15, v0                                  // 00000000BD44: 2628008F
	s_lshr_b32 s60, s63, 3                                     // 00000000BD48: 8F3C833F
	v_cmp_lt_u32_e64 s[44:45], v20, s60                        // 00000000BD4C: D0C9002C 00007914
	v_lshrrev_b32_e32 v20, 4, v0                               // 00000000BD54: 20280084
	v_mul_i32_i24_e32 v17, 2, v20                              // 00000000BD58: 0C222882
	v_and_b32_e32 v20, 15, v0                                  // 00000000BD5C: 2628008F
	v_mul_i32_i24_e32 v21, 0x84, v20                           // 00000000BD60: 0C2A28FF 00000084
	v_add_u32_e32 v17, v21, v17                                // 00000000BD68: 68222315
	s_mul_i32 s60, s46, 0x840                                  // 00000000BD6C: 923CFF2E 00000840
	v_add_u32_e32 v17, s60, v17                                // 00000000BD74: 6822223C
	v_lshlrev_b32_e32 v17, 2, v17                              // 00000000BD78: 24222282
	s_waitcnt vmcnt(0) expcnt(0) lgkmcnt(0)                    // 00000000BD7C: BF8C0000
	s_barrier                                                  // 00000000BD80: BF8A0000
	v_mov_b32_e32 v22, v126                                    // 00000000BD84: 7E2C037E
	v_mov_b32_e32 v23, v127                                    // 00000000BD88: 7E2E037F
	v_cvt_pk_f16_f32 v126, v22, v23                            // 00000000BD8C: D267007E 00022F16
	v_mov_b32_e32 v22, v128                                    // 00000000BD94: 7E2C0380
	v_mov_b32_e32 v23, v129                                    // 00000000BD98: 7E2E0381
	v_cvt_pk_f16_f32 v127, v22, v23                            // 00000000BD9C: D267007F 00022F16
	v_mov_b32_e32 v22, v130                                    // 00000000BDA4: 7E2C0382
	v_mov_b32_e32 v23, v131                                    // 00000000BDA8: 7E2E0383
	v_cvt_pk_f16_f32 v128, v22, v23                            // 00000000BDAC: D2670080 00022F16
	v_mov_b32_e32 v22, v132                                    // 00000000BDB4: 7E2C0384
	v_mov_b32_e32 v23, v133                                    // 00000000BDB8: 7E2E0385
	v_cvt_pk_f16_f32 v129, v22, v23                            // 00000000BDBC: D2670081 00022F16
	v_mov_b32_e32 v22, v134                                    // 00000000BDC4: 7E2C0386
	v_mov_b32_e32 v23, v135                                    // 00000000BDC8: 7E2E0387
	v_cvt_pk_f16_f32 v130, v22, v23                            // 00000000BDCC: D2670082 00022F16
	v_mov_b32_e32 v22, v136                                    // 00000000BDD4: 7E2C0388
	v_mov_b32_e32 v23, v137                                    // 00000000BDD8: 7E2E0389
	v_cvt_pk_f16_f32 v131, v22, v23                            // 00000000BDDC: D2670083 00022F16
	v_mov_b32_e32 v22, v138                                    // 00000000BDE4: 7E2C038A
	v_mov_b32_e32 v23, v139                                    // 00000000BDE8: 7E2E038B
	v_cvt_pk_f16_f32 v132, v22, v23                            // 00000000BDEC: D2670084 00022F16
	v_mov_b32_e32 v22, v140                                    // 00000000BDF4: 7E2C038C
	v_mov_b32_e32 v23, v141                                    // 00000000BDF8: 7E2E038D
	v_cvt_pk_f16_f32 v133, v22, v23                            // 00000000BDFC: D2670085 00022F16
	v_mov_b32_e32 v22, v142                                    // 00000000BE04: 7E2C038E
	v_mov_b32_e32 v23, v143                                    // 00000000BE08: 7E2E038F
	v_cvt_pk_f16_f32 v134, v22, v23                            // 00000000BE0C: D2670086 00022F16
	v_mov_b32_e32 v22, v144                                    // 00000000BE14: 7E2C0390
	v_mov_b32_e32 v23, v145                                    // 00000000BE18: 7E2E0391
	v_cvt_pk_f16_f32 v135, v22, v23                            // 00000000BE1C: D2670087 00022F16
	v_mov_b32_e32 v22, v146                                    // 00000000BE24: 7E2C0392
	v_mov_b32_e32 v23, v147                                    // 00000000BE28: 7E2E0393
	v_cvt_pk_f16_f32 v136, v22, v23                            // 00000000BE2C: D2670088 00022F16
	v_mov_b32_e32 v22, v148                                    // 00000000BE34: 7E2C0394
	v_mov_b32_e32 v23, v149                                    // 00000000BE38: 7E2E0395
	v_cvt_pk_f16_f32 v137, v22, v23                            // 00000000BE3C: D2670089 00022F16
	v_mov_b32_e32 v22, v150                                    // 00000000BE44: 7E2C0396
	v_mov_b32_e32 v23, v151                                    // 00000000BE48: 7E2E0397
	v_cvt_pk_f16_f32 v138, v22, v23                            // 00000000BE4C: D267008A 00022F16
	v_mov_b32_e32 v22, v152                                    // 00000000BE54: 7E2C0398
	v_mov_b32_e32 v23, v153                                    // 00000000BE58: 7E2E0399
	v_cvt_pk_f16_f32 v139, v22, v23                            // 00000000BE5C: D267008B 00022F16
	v_mov_b32_e32 v22, v154                                    // 00000000BE64: 7E2C039A
	v_mov_b32_e32 v23, v155                                    // 00000000BE68: 7E2E039B
	v_cvt_pk_f16_f32 v140, v22, v23                            // 00000000BE6C: D267008C 00022F16
	v_mov_b32_e32 v22, v156                                    // 00000000BE74: 7E2C039C
	v_mov_b32_e32 v23, v157                                    // 00000000BE78: 7E2E039D
	v_cvt_pk_f16_f32 v141, v22, v23                            // 00000000BE7C: D267008D 00022F16
	v_mov_b32_e32 v22, v158                                    // 00000000BE84: 7E2C039E
	v_mov_b32_e32 v23, v159                                    // 00000000BE88: 7E2E039F
	v_cvt_pk_f16_f32 v142, v22, v23                            // 00000000BE8C: D267008E 00022F16
	v_mov_b32_e32 v22, v160                                    // 00000000BE94: 7E2C03A0
	v_mov_b32_e32 v23, v161                                    // 00000000BE98: 7E2E03A1
	v_cvt_pk_f16_f32 v143, v22, v23                            // 00000000BE9C: D267008F 00022F16
	v_mov_b32_e32 v22, v162                                    // 00000000BEA4: 7E2C03A2
	v_mov_b32_e32 v23, v163                                    // 00000000BEA8: 7E2E03A3
	v_cvt_pk_f16_f32 v144, v22, v23                            // 00000000BEAC: D2670090 00022F16
	v_mov_b32_e32 v22, v164                                    // 00000000BEB4: 7E2C03A4
	v_mov_b32_e32 v23, v165                                    // 00000000BEB8: 7E2E03A5
	v_cvt_pk_f16_f32 v145, v22, v23                            // 00000000BEBC: D2670091 00022F16
	v_mov_b32_e32 v22, v166                                    // 00000000BEC4: 7E2C03A6
	v_mov_b32_e32 v23, v167                                    // 00000000BEC8: 7E2E03A7
	v_cvt_pk_f16_f32 v146, v22, v23                            // 00000000BECC: D2670092 00022F16
	v_mov_b32_e32 v22, v168                                    // 00000000BED4: 7E2C03A8
	v_mov_b32_e32 v23, v169                                    // 00000000BED8: 7E2E03A9
	v_cvt_pk_f16_f32 v147, v22, v23                            // 00000000BEDC: D2670093 00022F16
	v_mov_b32_e32 v22, v170                                    // 00000000BEE4: 7E2C03AA
	v_mov_b32_e32 v23, v171                                    // 00000000BEE8: 7E2E03AB
	v_cvt_pk_f16_f32 v148, v22, v23                            // 00000000BEEC: D2670094 00022F16
	v_mov_b32_e32 v22, v172                                    // 00000000BEF4: 7E2C03AC
	v_mov_b32_e32 v23, v173                                    // 00000000BEF8: 7E2E03AD
	v_cvt_pk_f16_f32 v149, v22, v23                            // 00000000BEFC: D2670095 00022F16
	v_mov_b32_e32 v22, v174                                    // 00000000BF04: 7E2C03AE
	v_mov_b32_e32 v23, v175                                    // 00000000BF08: 7E2E03AF
	v_cvt_pk_f16_f32 v150, v22, v23                            // 00000000BF0C: D2670096 00022F16
	v_mov_b32_e32 v22, v176                                    // 00000000BF14: 7E2C03B0
	v_mov_b32_e32 v23, v177                                    // 00000000BF18: 7E2E03B1
	v_cvt_pk_f16_f32 v151, v22, v23                            // 00000000BF1C: D2670097 00022F16
	v_mov_b32_e32 v22, v178                                    // 00000000BF24: 7E2C03B2
	v_mov_b32_e32 v23, v179                                    // 00000000BF28: 7E2E03B3
	v_cvt_pk_f16_f32 v152, v22, v23                            // 00000000BF2C: D2670098 00022F16
	v_mov_b32_e32 v22, v180                                    // 00000000BF34: 7E2C03B4
	v_mov_b32_e32 v23, v181                                    // 00000000BF38: 7E2E03B5
	v_cvt_pk_f16_f32 v153, v22, v23                            // 00000000BF3C: D2670099 00022F16
	v_mov_b32_e32 v22, v182                                    // 00000000BF44: 7E2C03B6
	v_mov_b32_e32 v23, v183                                    // 00000000BF48: 7E2E03B7
	v_cvt_pk_f16_f32 v154, v22, v23                            // 00000000BF4C: D267009A 00022F16
	v_mov_b32_e32 v22, v184                                    // 00000000BF54: 7E2C03B8
	v_mov_b32_e32 v23, v185                                    // 00000000BF58: 7E2E03B9
	v_cvt_pk_f16_f32 v155, v22, v23                            // 00000000BF5C: D267009B 00022F16
	v_mov_b32_e32 v22, v186                                    // 00000000BF64: 7E2C03BA
	v_mov_b32_e32 v23, v187                                    // 00000000BF68: 7E2E03BB
	v_cvt_pk_f16_f32 v156, v22, v23                            // 00000000BF6C: D267009C 00022F16
	v_mov_b32_e32 v22, v188                                    // 00000000BF74: 7E2C03BC
	v_mov_b32_e32 v23, v189                                    // 00000000BF78: 7E2E03BD
	v_cvt_pk_f16_f32 v157, v22, v23                            // 00000000BF7C: D267009D 00022F16
	ds_write_b64 v18, v[126:127]                               // 00000000BF84: D89A0000 00007E12
	ds_write_b64 v18, v[128:129] offset:528                    // 00000000BF8C: D89A0210 00008012
	ds_write_b64 v18, v[130:131] offset:1056                   // 00000000BF94: D89A0420 00008212
	ds_write_b64 v18, v[132:133] offset:1584                   // 00000000BF9C: D89A0630 00008412
	ds_write_b64 v18, v[134:135] offset:2112                   // 00000000BFA4: D89A0840 00008612
	ds_write_b64 v18, v[136:137] offset:2640                   // 00000000BFAC: D89A0A50 00008812
	ds_write_b64 v18, v[138:139] offset:3168                   // 00000000BFB4: D89A0C60 00008A12
	ds_write_b64 v18, v[140:141] offset:3696                   // 00000000BFBC: D89A0E70 00008C12
	ds_write_b64 v18, v[142:143] offset:4224                   // 00000000BFC4: D89A1080 00008E12
	ds_write_b64 v18, v[144:145] offset:4752                   // 00000000BFCC: D89A1290 00009012
	ds_write_b64 v18, v[146:147] offset:5280                   // 00000000BFD4: D89A14A0 00009212
	ds_write_b64 v18, v[148:149] offset:5808                   // 00000000BFDC: D89A16B0 00009412
	ds_write_b64 v18, v[150:151] offset:6336                   // 00000000BFE4: D89A18C0 00009612
	ds_write_b64 v18, v[152:153] offset:6864                   // 00000000BFEC: D89A1AD0 00009812
	ds_write_b64 v18, v[154:155] offset:7392                   // 00000000BFF4: D89A1CE0 00009A12
	ds_write_b64 v18, v[156:157] offset:7920                   // 00000000BFFC: D89A1EF0 00009C12
	s_waitcnt lgkmcnt(0)                                       // 00000000C004: BF8CC07F
	s_barrier                                                  // 00000000C008: BF8A0000
	ds_read_b64 v[126:127], v17                                // 00000000C00C: D8EC0000 7E000011
	ds_read_b64 v[128:129], v17 offset:256                     // 00000000C014: D8EC0100 80000011
	ds_read_b64 v[130:131], v17 offset:32                      // 00000000C01C: D8EC0020 82000011
	ds_read_b64 v[132:133], v17 offset:288                     // 00000000C024: D8EC0120 84000011
	ds_read_b64 v[134:135], v17 offset:64                      // 00000000C02C: D8EC0040 86000011
	ds_read_b64 v[136:137], v17 offset:320                     // 00000000C034: D8EC0140 88000011
	ds_read_b64 v[138:139], v17 offset:96                      // 00000000C03C: D8EC0060 8A000011
	ds_read_b64 v[140:141], v17 offset:352                     // 00000000C044: D8EC0160 8C000011
	ds_read_b64 v[142:143], v17 offset:128                     // 00000000C04C: D8EC0080 8E000011
	ds_read_b64 v[144:145], v17 offset:384                     // 00000000C054: D8EC0180 90000011
	ds_read_b64 v[146:147], v17 offset:160                     // 00000000C05C: D8EC00A0 92000011
	ds_read_b64 v[148:149], v17 offset:416                     // 00000000C064: D8EC01A0 94000011
	ds_read_b64 v[150:151], v17 offset:192                     // 00000000C06C: D8EC00C0 96000011
	ds_read_b64 v[152:153], v17 offset:448                     // 00000000C074: D8EC01C0 98000011
	ds_read_b64 v[154:155], v17 offset:224                     // 00000000C07C: D8EC00E0 9A000011
	ds_read_b64 v[156:157], v17 offset:480                     // 00000000C084: D8EC01E0 9C000011
	s_waitcnt lgkmcnt(0)                                       // 00000000C08C: BF8CC07F
	s_mov_b32 s70, s53                                         // 00000000C090: BEC60035
	s_mov_b64 exec, s[44:45]                                   // 00000000C094: BEFE012C
	buffer_store_dwordx4 v[126:129], v3, s[40:43], 0 idxen     // 00000000C098: E07C2000 800A7E03
	s_mov_b64 exec, s[100:101]                                 // 00000000C0A0: BEFE0164
	v_add_u32_e32 v3, s70, v3                                  // 00000000C0A4: 68060646
	s_mov_b64 exec, s[44:45]                                   // 00000000C0A8: BEFE012C
	buffer_store_dwordx4 v[130:133], v3, s[40:43], 0 idxen     // 00000000C0AC: E07C2000 800A8203
	s_mov_b64 exec, s[100:101]                                 // 00000000C0B4: BEFE0164
	v_add_u32_e32 v3, s70, v3                                  // 00000000C0B8: 68060646
	s_mov_b64 exec, s[44:45]                                   // 00000000C0BC: BEFE012C
	buffer_store_dwordx4 v[134:137], v3, s[40:43], 0 idxen     // 00000000C0C0: E07C2000 800A8603
	s_mov_b64 exec, s[100:101]                                 // 00000000C0C8: BEFE0164
	v_add_u32_e32 v3, s70, v3                                  // 00000000C0CC: 68060646
	s_mov_b64 exec, s[44:45]                                   // 00000000C0D0: BEFE012C
	buffer_store_dwordx4 v[138:141], v3, s[40:43], 0 idxen     // 00000000C0D4: E07C2000 800A8A03
	s_mov_b64 exec, s[100:101]                                 // 00000000C0DC: BEFE0164
	v_add_u32_e32 v3, s70, v3                                  // 00000000C0E0: 68060646
	s_mul_i32 s60, 12, s70                                     // 00000000C0E4: 923C468C
	v_add_u32_e32 v3, s60, v3                                  // 00000000C0E8: 6806063C
	s_mov_b64 exec, s[44:45]                                   // 00000000C0EC: BEFE012C
	buffer_store_dwordx4 v[142:145], v3, s[40:43], 0 idxen     // 00000000C0F0: E07C2000 800A8E03
	s_mov_b64 exec, s[100:101]                                 // 00000000C0F8: BEFE0164
	v_add_u32_e32 v3, s70, v3                                  // 00000000C0FC: 68060646
	s_mov_b64 exec, s[44:45]                                   // 00000000C100: BEFE012C
	buffer_store_dwordx4 v[146:149], v3, s[40:43], 0 idxen     // 00000000C104: E07C2000 800A9203
	s_mov_b64 exec, s[100:101]                                 // 00000000C10C: BEFE0164
	v_add_u32_e32 v3, s70, v3                                  // 00000000C110: 68060646
	s_mov_b64 exec, s[44:45]                                   // 00000000C114: BEFE012C
	buffer_store_dwordx4 v[150:153], v3, s[40:43], 0 idxen     // 00000000C118: E07C2000 800A9603
	s_mov_b64 exec, s[100:101]                                 // 00000000C120: BEFE0164
	v_add_u32_e32 v3, s70, v3                                  // 00000000C124: 68060646
	s_mov_b64 exec, s[44:45]                                   // 00000000C128: BEFE012C
	buffer_store_dwordx4 v[154:157], v3, s[40:43], 0 idxen     // 00000000C12C: E07C2000 800A9A03
	s_mov_b64 exec, s[100:101]                                 // 00000000C134: BEFE0164
	v_add_u32_e32 v3, s70, v3                                  // 00000000C138: 68060646
	s_mul_i32 s60, 12, s70                                     // 00000000C13C: 923C468C
	v_add_u32_e32 v3, s60, v3                                  // 00000000C140: 6806063C
	s_barrier                                                  // 00000000C144: BF8A0000
	s_cmp_ge_i32 1, s72                                        // 00000000C148: BF034881
	s_cbranch_scc1 label_216F                                  // 00000000C14C: BF8500F3
	v_mov_b32_e32 v22, v190                                    // 00000000C150: 7E2C03BE
	v_mov_b32_e32 v23, v191                                    // 00000000C154: 7E2E03BF
	v_cvt_pk_f16_f32 v158, v22, v23                            // 00000000C158: D267009E 00022F16
	v_mov_b32_e32 v22, v192                                    // 00000000C160: 7E2C03C0
	v_mov_b32_e32 v23, v193                                    // 00000000C164: 7E2E03C1
	v_cvt_pk_f16_f32 v159, v22, v23                            // 00000000C168: D267009F 00022F16
	v_mov_b32_e32 v22, v194                                    // 00000000C170: 7E2C03C2
	v_mov_b32_e32 v23, v195                                    // 00000000C174: 7E2E03C3
	v_cvt_pk_f16_f32 v160, v22, v23                            // 00000000C178: D26700A0 00022F16
	v_mov_b32_e32 v22, v196                                    // 00000000C180: 7E2C03C4
	v_mov_b32_e32 v23, v197                                    // 00000000C184: 7E2E03C5
	v_cvt_pk_f16_f32 v161, v22, v23                            // 00000000C188: D26700A1 00022F16
	v_mov_b32_e32 v22, v198                                    // 00000000C190: 7E2C03C6
	v_mov_b32_e32 v23, v199                                    // 00000000C194: 7E2E03C7
	v_cvt_pk_f16_f32 v162, v22, v23                            // 00000000C198: D26700A2 00022F16
	v_mov_b32_e32 v22, v200                                    // 00000000C1A0: 7E2C03C8
	v_mov_b32_e32 v23, v201                                    // 00000000C1A4: 7E2E03C9
	v_cvt_pk_f16_f32 v163, v22, v23                            // 00000000C1A8: D26700A3 00022F16
	v_mov_b32_e32 v22, v202                                    // 00000000C1B0: 7E2C03CA
	v_mov_b32_e32 v23, v203                                    // 00000000C1B4: 7E2E03CB
	v_cvt_pk_f16_f32 v164, v22, v23                            // 00000000C1B8: D26700A4 00022F16
	v_mov_b32_e32 v22, v204                                    // 00000000C1C0: 7E2C03CC
	v_mov_b32_e32 v23, v205                                    // 00000000C1C4: 7E2E03CD
	v_cvt_pk_f16_f32 v165, v22, v23                            // 00000000C1C8: D26700A5 00022F16
	v_mov_b32_e32 v22, v206                                    // 00000000C1D0: 7E2C03CE
	v_mov_b32_e32 v23, v207                                    // 00000000C1D4: 7E2E03CF
	v_cvt_pk_f16_f32 v166, v22, v23                            // 00000000C1D8: D26700A6 00022F16
	v_mov_b32_e32 v22, v208                                    // 00000000C1E0: 7E2C03D0
	v_mov_b32_e32 v23, v209                                    // 00000000C1E4: 7E2E03D1
	v_cvt_pk_f16_f32 v167, v22, v23                            // 00000000C1E8: D26700A7 00022F16
	v_mov_b32_e32 v22, v210                                    // 00000000C1F0: 7E2C03D2
	v_mov_b32_e32 v23, v211                                    // 00000000C1F4: 7E2E03D3
	v_cvt_pk_f16_f32 v168, v22, v23                            // 00000000C1F8: D26700A8 00022F16
	v_mov_b32_e32 v22, v212                                    // 00000000C200: 7E2C03D4
	v_mov_b32_e32 v23, v213                                    // 00000000C204: 7E2E03D5
	v_cvt_pk_f16_f32 v169, v22, v23                            // 00000000C208: D26700A9 00022F16
	v_mov_b32_e32 v22, v214                                    // 00000000C210: 7E2C03D6
	v_mov_b32_e32 v23, v215                                    // 00000000C214: 7E2E03D7
	v_cvt_pk_f16_f32 v170, v22, v23                            // 00000000C218: D26700AA 00022F16
	v_mov_b32_e32 v22, v216                                    // 00000000C220: 7E2C03D8
	v_mov_b32_e32 v23, v217                                    // 00000000C224: 7E2E03D9
	v_cvt_pk_f16_f32 v171, v22, v23                            // 00000000C228: D26700AB 00022F16
	v_mov_b32_e32 v22, v218                                    // 00000000C230: 7E2C03DA
	v_mov_b32_e32 v23, v219                                    // 00000000C234: 7E2E03DB
	v_cvt_pk_f16_f32 v172, v22, v23                            // 00000000C238: D26700AC 00022F16
	v_mov_b32_e32 v22, v220                                    // 00000000C240: 7E2C03DC
	v_mov_b32_e32 v23, v221                                    // 00000000C244: 7E2E03DD
	v_cvt_pk_f16_f32 v173, v22, v23                            // 00000000C248: D26700AD 00022F16
	v_mov_b32_e32 v22, v222                                    // 00000000C250: 7E2C03DE
	v_mov_b32_e32 v23, v223                                    // 00000000C254: 7E2E03DF
	v_cvt_pk_f16_f32 v174, v22, v23                            // 00000000C258: D26700AE 00022F16
	v_mov_b32_e32 v22, v224                                    // 00000000C260: 7E2C03E0
	v_mov_b32_e32 v23, v225                                    // 00000000C264: 7E2E03E1
	v_cvt_pk_f16_f32 v175, v22, v23                            // 00000000C268: D26700AF 00022F16
	v_mov_b32_e32 v22, v226                                    // 00000000C270: 7E2C03E2
	v_mov_b32_e32 v23, v227                                    // 00000000C274: 7E2E03E3
	v_cvt_pk_f16_f32 v176, v22, v23                            // 00000000C278: D26700B0 00022F16
	v_mov_b32_e32 v22, v228                                    // 00000000C280: 7E2C03E4
	v_mov_b32_e32 v23, v229                                    // 00000000C284: 7E2E03E5
	v_cvt_pk_f16_f32 v177, v22, v23                            // 00000000C288: D26700B1 00022F16
	v_mov_b32_e32 v22, v230                                    // 00000000C290: 7E2C03E6
	v_mov_b32_e32 v23, v231                                    // 00000000C294: 7E2E03E7
	v_cvt_pk_f16_f32 v178, v22, v23                            // 00000000C298: D26700B2 00022F16
	v_mov_b32_e32 v22, v232                                    // 00000000C2A0: 7E2C03E8
	v_mov_b32_e32 v23, v233                                    // 00000000C2A4: 7E2E03E9
	v_cvt_pk_f16_f32 v179, v22, v23                            // 00000000C2A8: D26700B3 00022F16
	v_mov_b32_e32 v22, v234                                    // 00000000C2B0: 7E2C03EA
	v_mov_b32_e32 v23, v235                                    // 00000000C2B4: 7E2E03EB
	v_cvt_pk_f16_f32 v180, v22, v23                            // 00000000C2B8: D26700B4 00022F16
	v_mov_b32_e32 v22, v236                                    // 00000000C2C0: 7E2C03EC
	v_mov_b32_e32 v23, v237                                    // 00000000C2C4: 7E2E03ED
	v_cvt_pk_f16_f32 v181, v22, v23                            // 00000000C2C8: D26700B5 00022F16
	v_mov_b32_e32 v22, v238                                    // 00000000C2D0: 7E2C03EE
	v_mov_b32_e32 v23, v239                                    // 00000000C2D4: 7E2E03EF
	v_cvt_pk_f16_f32 v182, v22, v23                            // 00000000C2D8: D26700B6 00022F16
	v_mov_b32_e32 v22, v240                                    // 00000000C2E0: 7E2C03F0
	v_mov_b32_e32 v23, v241                                    // 00000000C2E4: 7E2E03F1
	v_cvt_pk_f16_f32 v183, v22, v23                            // 00000000C2E8: D26700B7 00022F16
	v_mov_b32_e32 v22, v242                                    // 00000000C2F0: 7E2C03F2
	v_mov_b32_e32 v23, v243                                    // 00000000C2F4: 7E2E03F3
	v_cvt_pk_f16_f32 v184, v22, v23                            // 00000000C2F8: D26700B8 00022F16
	v_mov_b32_e32 v22, v244                                    // 00000000C300: 7E2C03F4
	v_mov_b32_e32 v23, v245                                    // 00000000C304: 7E2E03F5
	v_cvt_pk_f16_f32 v185, v22, v23                            // 00000000C308: D26700B9 00022F16
	v_mov_b32_e32 v22, v246                                    // 00000000C310: 7E2C03F6
	v_mov_b32_e32 v23, v247                                    // 00000000C314: 7E2E03F7
	v_cvt_pk_f16_f32 v186, v22, v23                            // 00000000C318: D26700BA 00022F16
	v_mov_b32_e32 v22, v248                                    // 00000000C320: 7E2C03F8
	v_mov_b32_e32 v23, v249                                    // 00000000C324: 7E2E03F9
	v_cvt_pk_f16_f32 v187, v22, v23                            // 00000000C328: D26700BB 00022F16
	v_mov_b32_e32 v22, v250                                    // 00000000C330: 7E2C03FA
	v_mov_b32_e32 v23, v251                                    // 00000000C334: 7E2E03FB
	v_cvt_pk_f16_f32 v188, v22, v23                            // 00000000C338: D26700BC 00022F16
	v_mov_b32_e32 v22, v252                                    // 00000000C340: 7E2C03FC
	v_mov_b32_e32 v23, v253                                    // 00000000C344: 7E2E03FD
	v_cvt_pk_f16_f32 v189, v22, v23                            // 00000000C348: D26700BD 00022F16
	ds_write_b64 v18, v[158:159] offset:33792                  // 00000000C350: D89A8400 00009E12
	ds_write_b64 v18, v[160:161] offset:34320                  // 00000000C358: D89A8610 0000A012
	ds_write_b64 v18, v[162:163] offset:34848                  // 00000000C360: D89A8820 0000A212
	ds_write_b64 v18, v[164:165] offset:35376                  // 00000000C368: D89A8A30 0000A412
	ds_write_b64 v18, v[166:167] offset:35904                  // 00000000C370: D89A8C40 0000A612
	ds_write_b64 v18, v[168:169] offset:36432                  // 00000000C378: D89A8E50 0000A812
	ds_write_b64 v18, v[170:171] offset:36960                  // 00000000C380: D89A9060 0000AA12
	ds_write_b64 v18, v[172:173] offset:37488                  // 00000000C388: D89A9270 0000AC12
	ds_write_b64 v18, v[174:175] offset:38016                  // 00000000C390: D89A9480 0000AE12
	ds_write_b64 v18, v[176:177] offset:38544                  // 00000000C398: D89A9690 0000B012
	ds_write_b64 v18, v[178:179] offset:39072                  // 00000000C3A0: D89A98A0 0000B212
	ds_write_b64 v18, v[180:181] offset:39600                  // 00000000C3A8: D89A9AB0 0000B412
	ds_write_b64 v18, v[182:183] offset:40128                  // 00000000C3B0: D89A9CC0 0000B612
	ds_write_b64 v18, v[184:185] offset:40656                  // 00000000C3B8: D89A9ED0 0000B812
	ds_write_b64 v18, v[186:187] offset:41184                  // 00000000C3C0: D89AA0E0 0000BA12
	ds_write_b64 v18, v[188:189] offset:41712                  // 00000000C3C8: D89AA2F0 0000BC12
	s_waitcnt lgkmcnt(0)                                       // 00000000C3D0: BF8CC07F
	s_barrier                                                  // 00000000C3D4: BF8A0000
	ds_read_b64 v[158:159], v17 offset:33792                   // 00000000C3D8: D8EC8400 9E000011
	ds_read_b64 v[160:161], v17 offset:34048                   // 00000000C3E0: D8EC8500 A0000011
	ds_read_b64 v[162:163], v17 offset:33824                   // 00000000C3E8: D8EC8420 A2000011
	ds_read_b64 v[164:165], v17 offset:34080                   // 00000000C3F0: D8EC8520 A4000011
	ds_read_b64 v[166:167], v17 offset:33856                   // 00000000C3F8: D8EC8440 A6000011
	ds_read_b64 v[168:169], v17 offset:34112                   // 00000000C400: D8EC8540 A8000011
	ds_read_b64 v[170:171], v17 offset:33888                   // 00000000C408: D8EC8460 AA000011
	ds_read_b64 v[172:173], v17 offset:34144                   // 00000000C410: D8EC8560 AC000011
	ds_read_b64 v[174:175], v17 offset:33920                   // 00000000C418: D8EC8480 AE000011
	ds_read_b64 v[176:177], v17 offset:34176                   // 00000000C420: D8EC8580 B0000011
	ds_read_b64 v[178:179], v17 offset:33952                   // 00000000C428: D8EC84A0 B2000011
	ds_read_b64 v[180:181], v17 offset:34208                   // 00000000C430: D8EC85A0 B4000011
	ds_read_b64 v[182:183], v17 offset:33984                   // 00000000C438: D8EC84C0 B6000011
	ds_read_b64 v[184:185], v17 offset:34240                   // 00000000C440: D8EC85C0 B8000011
	ds_read_b64 v[186:187], v17 offset:34016                   // 00000000C448: D8EC84E0 BA000011
	ds_read_b64 v[188:189], v17 offset:34272                   // 00000000C450: D8EC85E0 BC000011
	s_waitcnt lgkmcnt(0)                                       // 00000000C458: BF8CC07F
	s_mov_b32 s70, s53                                         // 00000000C45C: BEC60035
	s_mov_b64 exec, s[44:45]                                   // 00000000C460: BEFE012C
	buffer_store_dwordx4 v[158:161], v3, s[40:43], 0 idxen     // 00000000C464: E07C2000 800A9E03
	s_mov_b64 exec, s[100:101]                                 // 00000000C46C: BEFE0164
	v_add_u32_e32 v3, s70, v3                                  // 00000000C470: 68060646
	s_mov_b64 exec, s[44:45]                                   // 00000000C474: BEFE012C
	buffer_store_dwordx4 v[162:165], v3, s[40:43], 0 idxen     // 00000000C478: E07C2000 800AA203
	s_mov_b64 exec, s[100:101]                                 // 00000000C480: BEFE0164
	v_add_u32_e32 v3, s70, v3                                  // 00000000C484: 68060646
	s_mov_b64 exec, s[44:45]                                   // 00000000C488: BEFE012C
	buffer_store_dwordx4 v[166:169], v3, s[40:43], 0 idxen     // 00000000C48C: E07C2000 800AA603
	s_mov_b64 exec, s[100:101]                                 // 00000000C494: BEFE0164
	v_add_u32_e32 v3, s70, v3                                  // 00000000C498: 68060646
	s_mov_b64 exec, s[44:45]                                   // 00000000C49C: BEFE012C
	buffer_store_dwordx4 v[170:173], v3, s[40:43], 0 idxen     // 00000000C4A0: E07C2000 800AAA03
	s_mov_b64 exec, s[100:101]                                 // 00000000C4A8: BEFE0164
	v_add_u32_e32 v3, s70, v3                                  // 00000000C4AC: 68060646
	s_mul_i32 s60, 12, s70                                     // 00000000C4B0: 923C468C
	v_add_u32_e32 v3, s60, v3                                  // 00000000C4B4: 6806063C
	s_mov_b64 exec, s[44:45]                                   // 00000000C4B8: BEFE012C
	buffer_store_dwordx4 v[174:177], v3, s[40:43], 0 idxen     // 00000000C4BC: E07C2000 800AAE03
	s_mov_b64 exec, s[100:101]                                 // 00000000C4C4: BEFE0164
	v_add_u32_e32 v3, s70, v3                                  // 00000000C4C8: 68060646
	s_mov_b64 exec, s[44:45]                                   // 00000000C4CC: BEFE012C
	buffer_store_dwordx4 v[178:181], v3, s[40:43], 0 idxen     // 00000000C4D0: E07C2000 800AB203
	s_mov_b64 exec, s[100:101]                                 // 00000000C4D8: BEFE0164
	v_add_u32_e32 v3, s70, v3                                  // 00000000C4DC: 68060646
	s_mov_b64 exec, s[44:45]                                   // 00000000C4E0: BEFE012C
	buffer_store_dwordx4 v[182:185], v3, s[40:43], 0 idxen     // 00000000C4E4: E07C2000 800AB603
	s_mov_b64 exec, s[100:101]                                 // 00000000C4EC: BEFE0164
	v_add_u32_e32 v3, s70, v3                                  // 00000000C4F0: 68060646
	s_mov_b64 exec, s[44:45]                                   // 00000000C4F4: BEFE012C
	buffer_store_dwordx4 v[186:189], v3, s[40:43], 0 idxen     // 00000000C4F8: E07C2000 800ABA03
	s_mov_b64 exec, s[100:101]                                 // 00000000C500: BEFE0164
	v_add_u32_e32 v3, s70, v3                                  // 00000000C504: 68060646
	s_mul_i32 s60, 12, s70                                     // 00000000C508: 923C468C
	v_add_u32_e32 v3, s60, v3                                  // 00000000C50C: 6806063C
	s_barrier                                                  // 00000000C510: BF8A0000
	s_cmp_ge_i32 2, s72                                        // 00000000C514: BF034882
	s_cbranch_scc1 label_216F                                  // 00000000C518: BF850000

000000000000c51c <label_216F>:
	v_accvgpr_read_b32 v22, a128                               // 00000000C51C: D3D84016 18000180
	v_accvgpr_read_b32 v23, a129                               // 00000000C524: D3D84017 18000181
	v_mul_f32_e32 v22, s47, v22                                // 00000000C52C: 0A2C2C2F
	v_mul_f32_e32 v23, s47, v23                                // 00000000C530: 0A2E2E2F
	v_cvt_pk_f16_f32 v126, v22, v23                            // 00000000C534: D267007E 00022F16
	v_accvgpr_read_b32 v22, a130                               // 00000000C53C: D3D84016 18000182
	v_accvgpr_read_b32 v23, a131                               // 00000000C544: D3D84017 18000183
	v_mul_f32_e32 v22, s47, v22                                // 00000000C54C: 0A2C2C2F
	v_mul_f32_e32 v23, s47, v23                                // 00000000C550: 0A2E2E2F
	v_cvt_pk_f16_f32 v127, v22, v23                            // 00000000C554: D267007F 00022F16
	v_accvgpr_read_b32 v22, a132                               // 00000000C55C: D3D84016 18000184
	v_accvgpr_read_b32 v23, a133                               // 00000000C564: D3D84017 18000185
	v_mul_f32_e32 v22, s47, v22                                // 00000000C56C: 0A2C2C2F
	v_mul_f32_e32 v23, s47, v23                                // 00000000C570: 0A2E2E2F
	v_cvt_pk_f16_f32 v128, v22, v23                            // 00000000C574: D2670080 00022F16
	v_accvgpr_read_b32 v22, a134                               // 00000000C57C: D3D84016 18000186
	v_accvgpr_read_b32 v23, a135                               // 00000000C584: D3D84017 18000187
	v_mul_f32_e32 v22, s47, v22                                // 00000000C58C: 0A2C2C2F
	v_mul_f32_e32 v23, s47, v23                                // 00000000C590: 0A2E2E2F
	v_cvt_pk_f16_f32 v129, v22, v23                            // 00000000C594: D2670081 00022F16
	v_accvgpr_read_b32 v22, a136                               // 00000000C59C: D3D84016 18000188
	v_accvgpr_read_b32 v23, a137                               // 00000000C5A4: D3D84017 18000189
	v_mul_f32_e32 v22, s47, v22                                // 00000000C5AC: 0A2C2C2F
	v_mul_f32_e32 v23, s47, v23                                // 00000000C5B0: 0A2E2E2F
	v_cvt_pk_f16_f32 v130, v22, v23                            // 00000000C5B4: D2670082 00022F16
	v_accvgpr_read_b32 v22, a138                               // 00000000C5BC: D3D84016 1800018A
	v_accvgpr_read_b32 v23, a139                               // 00000000C5C4: D3D84017 1800018B
	v_mul_f32_e32 v22, s47, v22                                // 00000000C5CC: 0A2C2C2F
	v_mul_f32_e32 v23, s47, v23                                // 00000000C5D0: 0A2E2E2F
	v_cvt_pk_f16_f32 v131, v22, v23                            // 00000000C5D4: D2670083 00022F16
	v_accvgpr_read_b32 v22, a140                               // 00000000C5DC: D3D84016 1800018C
	v_accvgpr_read_b32 v23, a141                               // 00000000C5E4: D3D84017 1800018D
	v_mul_f32_e32 v22, s47, v22                                // 00000000C5EC: 0A2C2C2F
	v_mul_f32_e32 v23, s47, v23                                // 00000000C5F0: 0A2E2E2F
	v_cvt_pk_f16_f32 v132, v22, v23                            // 00000000C5F4: D2670084 00022F16
	v_accvgpr_read_b32 v22, a142                               // 00000000C5FC: D3D84016 1800018E
	v_accvgpr_read_b32 v23, a143                               // 00000000C604: D3D84017 1800018F
	v_mul_f32_e32 v22, s47, v22                                // 00000000C60C: 0A2C2C2F
	v_mul_f32_e32 v23, s47, v23                                // 00000000C610: 0A2E2E2F
	v_cvt_pk_f16_f32 v133, v22, v23                            // 00000000C614: D2670085 00022F16
	v_accvgpr_read_b32 v22, a144                               // 00000000C61C: D3D84016 18000190
	v_accvgpr_read_b32 v23, a145                               // 00000000C624: D3D84017 18000191
	v_mul_f32_e32 v22, s47, v22                                // 00000000C62C: 0A2C2C2F
	v_mul_f32_e32 v23, s47, v23                                // 00000000C630: 0A2E2E2F
	v_cvt_pk_f16_f32 v134, v22, v23                            // 00000000C634: D2670086 00022F16
	v_accvgpr_read_b32 v22, a146                               // 00000000C63C: D3D84016 18000192
	v_accvgpr_read_b32 v23, a147                               // 00000000C644: D3D84017 18000193
	v_mul_f32_e32 v22, s47, v22                                // 00000000C64C: 0A2C2C2F
	v_mul_f32_e32 v23, s47, v23                                // 00000000C650: 0A2E2E2F
	v_cvt_pk_f16_f32 v135, v22, v23                            // 00000000C654: D2670087 00022F16
	v_accvgpr_read_b32 v22, a148                               // 00000000C65C: D3D84016 18000194
	v_accvgpr_read_b32 v23, a149                               // 00000000C664: D3D84017 18000195
	v_mul_f32_e32 v22, s47, v22                                // 00000000C66C: 0A2C2C2F
	v_mul_f32_e32 v23, s47, v23                                // 00000000C670: 0A2E2E2F
	v_cvt_pk_f16_f32 v136, v22, v23                            // 00000000C674: D2670088 00022F16
	v_accvgpr_read_b32 v22, a150                               // 00000000C67C: D3D84016 18000196
	v_accvgpr_read_b32 v23, a151                               // 00000000C684: D3D84017 18000197
	v_mul_f32_e32 v22, s47, v22                                // 00000000C68C: 0A2C2C2F
	v_mul_f32_e32 v23, s47, v23                                // 00000000C690: 0A2E2E2F
	v_cvt_pk_f16_f32 v137, v22, v23                            // 00000000C694: D2670089 00022F16
	v_accvgpr_read_b32 v22, a152                               // 00000000C69C: D3D84016 18000198
	v_accvgpr_read_b32 v23, a153                               // 00000000C6A4: D3D84017 18000199
	v_mul_f32_e32 v22, s47, v22                                // 00000000C6AC: 0A2C2C2F
	v_mul_f32_e32 v23, s47, v23                                // 00000000C6B0: 0A2E2E2F
	v_cvt_pk_f16_f32 v138, v22, v23                            // 00000000C6B4: D267008A 00022F16
	v_accvgpr_read_b32 v22, a154                               // 00000000C6BC: D3D84016 1800019A
	v_accvgpr_read_b32 v23, a155                               // 00000000C6C4: D3D84017 1800019B
	v_mul_f32_e32 v22, s47, v22                                // 00000000C6CC: 0A2C2C2F
	v_mul_f32_e32 v23, s47, v23                                // 00000000C6D0: 0A2E2E2F
	v_cvt_pk_f16_f32 v139, v22, v23                            // 00000000C6D4: D267008B 00022F16
	v_accvgpr_read_b32 v22, a156                               // 00000000C6DC: D3D84016 1800019C
	v_accvgpr_read_b32 v23, a157                               // 00000000C6E4: D3D84017 1800019D
	v_mul_f32_e32 v22, s47, v22                                // 00000000C6EC: 0A2C2C2F
	v_mul_f32_e32 v23, s47, v23                                // 00000000C6F0: 0A2E2E2F
	v_cvt_pk_f16_f32 v140, v22, v23                            // 00000000C6F4: D267008C 00022F16
	v_accvgpr_read_b32 v22, a158                               // 00000000C6FC: D3D84016 1800019E
	v_accvgpr_read_b32 v23, a159                               // 00000000C704: D3D84017 1800019F
	v_mul_f32_e32 v22, s47, v22                                // 00000000C70C: 0A2C2C2F
	v_mul_f32_e32 v23, s47, v23                                // 00000000C710: 0A2E2E2F
	v_cvt_pk_f16_f32 v141, v22, v23                            // 00000000C714: D267008D 00022F16
	v_accvgpr_read_b32 v22, a160                               // 00000000C71C: D3D84016 180001A0
	v_accvgpr_read_b32 v23, a161                               // 00000000C724: D3D84017 180001A1
	v_mul_f32_e32 v22, s47, v22                                // 00000000C72C: 0A2C2C2F
	v_mul_f32_e32 v23, s47, v23                                // 00000000C730: 0A2E2E2F
	v_cvt_pk_f16_f32 v142, v22, v23                            // 00000000C734: D267008E 00022F16
	v_accvgpr_read_b32 v22, a162                               // 00000000C73C: D3D84016 180001A2
	v_accvgpr_read_b32 v23, a163                               // 00000000C744: D3D84017 180001A3
	v_mul_f32_e32 v22, s47, v22                                // 00000000C74C: 0A2C2C2F
	v_mul_f32_e32 v23, s47, v23                                // 00000000C750: 0A2E2E2F
	v_cvt_pk_f16_f32 v143, v22, v23                            // 00000000C754: D267008F 00022F16
	v_accvgpr_read_b32 v22, a164                               // 00000000C75C: D3D84016 180001A4
	v_accvgpr_read_b32 v23, a165                               // 00000000C764: D3D84017 180001A5
	v_mul_f32_e32 v22, s47, v22                                // 00000000C76C: 0A2C2C2F
	v_mul_f32_e32 v23, s47, v23                                // 00000000C770: 0A2E2E2F
	v_cvt_pk_f16_f32 v144, v22, v23                            // 00000000C774: D2670090 00022F16
	v_accvgpr_read_b32 v22, a166                               // 00000000C77C: D3D84016 180001A6
	v_accvgpr_read_b32 v23, a167                               // 00000000C784: D3D84017 180001A7
	v_mul_f32_e32 v22, s47, v22                                // 00000000C78C: 0A2C2C2F
	v_mul_f32_e32 v23, s47, v23                                // 00000000C790: 0A2E2E2F
	v_cvt_pk_f16_f32 v145, v22, v23                            // 00000000C794: D2670091 00022F16
	v_accvgpr_read_b32 v22, a168                               // 00000000C79C: D3D84016 180001A8
	v_accvgpr_read_b32 v23, a169                               // 00000000C7A4: D3D84017 180001A9
	v_mul_f32_e32 v22, s47, v22                                // 00000000C7AC: 0A2C2C2F
	v_mul_f32_e32 v23, s47, v23                                // 00000000C7B0: 0A2E2E2F
	v_cvt_pk_f16_f32 v146, v22, v23                            // 00000000C7B4: D2670092 00022F16
	v_accvgpr_read_b32 v22, a170                               // 00000000C7BC: D3D84016 180001AA
	v_accvgpr_read_b32 v23, a171                               // 00000000C7C4: D3D84017 180001AB
	v_mul_f32_e32 v22, s47, v22                                // 00000000C7CC: 0A2C2C2F
	v_mul_f32_e32 v23, s47, v23                                // 00000000C7D0: 0A2E2E2F
	v_cvt_pk_f16_f32 v147, v22, v23                            // 00000000C7D4: D2670093 00022F16
	v_accvgpr_read_b32 v22, a172                               // 00000000C7DC: D3D84016 180001AC
	v_accvgpr_read_b32 v23, a173                               // 00000000C7E4: D3D84017 180001AD
	v_mul_f32_e32 v22, s47, v22                                // 00000000C7EC: 0A2C2C2F
	v_mul_f32_e32 v23, s47, v23                                // 00000000C7F0: 0A2E2E2F
	v_cvt_pk_f16_f32 v148, v22, v23                            // 00000000C7F4: D2670094 00022F16
	v_accvgpr_read_b32 v22, a174                               // 00000000C7FC: D3D84016 180001AE
	v_accvgpr_read_b32 v23, a175                               // 00000000C804: D3D84017 180001AF
	v_mul_f32_e32 v22, s47, v22                                // 00000000C80C: 0A2C2C2F
	v_mul_f32_e32 v23, s47, v23                                // 00000000C810: 0A2E2E2F
	v_cvt_pk_f16_f32 v149, v22, v23                            // 00000000C814: D2670095 00022F16
	v_accvgpr_read_b32 v22, a176                               // 00000000C81C: D3D84016 180001B0
	v_accvgpr_read_b32 v23, a177                               // 00000000C824: D3D84017 180001B1
	v_mul_f32_e32 v22, s47, v22                                // 00000000C82C: 0A2C2C2F
	v_mul_f32_e32 v23, s47, v23                                // 00000000C830: 0A2E2E2F
	v_cvt_pk_f16_f32 v150, v22, v23                            // 00000000C834: D2670096 00022F16
	v_accvgpr_read_b32 v22, a178                               // 00000000C83C: D3D84016 180001B2
	v_accvgpr_read_b32 v23, a179                               // 00000000C844: D3D84017 180001B3
	v_mul_f32_e32 v22, s47, v22                                // 00000000C84C: 0A2C2C2F
	v_mul_f32_e32 v23, s47, v23                                // 00000000C850: 0A2E2E2F
	v_cvt_pk_f16_f32 v151, v22, v23                            // 00000000C854: D2670097 00022F16
	v_accvgpr_read_b32 v22, a180                               // 00000000C85C: D3D84016 180001B4
	v_accvgpr_read_b32 v23, a181                               // 00000000C864: D3D84017 180001B5
	v_mul_f32_e32 v22, s47, v22                                // 00000000C86C: 0A2C2C2F
	v_mul_f32_e32 v23, s47, v23                                // 00000000C870: 0A2E2E2F
	v_cvt_pk_f16_f32 v152, v22, v23                            // 00000000C874: D2670098 00022F16
	v_accvgpr_read_b32 v22, a182                               // 00000000C87C: D3D84016 180001B6
	v_accvgpr_read_b32 v23, a183                               // 00000000C884: D3D84017 180001B7
	v_mul_f32_e32 v22, s47, v22                                // 00000000C88C: 0A2C2C2F
	v_mul_f32_e32 v23, s47, v23                                // 00000000C890: 0A2E2E2F
	v_cvt_pk_f16_f32 v153, v22, v23                            // 00000000C894: D2670099 00022F16
	v_accvgpr_read_b32 v22, a184                               // 00000000C89C: D3D84016 180001B8
	v_accvgpr_read_b32 v23, a185                               // 00000000C8A4: D3D84017 180001B9
	v_mul_f32_e32 v22, s47, v22                                // 00000000C8AC: 0A2C2C2F
	v_mul_f32_e32 v23, s47, v23                                // 00000000C8B0: 0A2E2E2F
	v_cvt_pk_f16_f32 v154, v22, v23                            // 00000000C8B4: D267009A 00022F16
	v_accvgpr_read_b32 v22, a186                               // 00000000C8BC: D3D84016 180001BA
	v_accvgpr_read_b32 v23, a187                               // 00000000C8C4: D3D84017 180001BB
	v_mul_f32_e32 v22, s47, v22                                // 00000000C8CC: 0A2C2C2F
	v_mul_f32_e32 v23, s47, v23                                // 00000000C8D0: 0A2E2E2F
	v_cvt_pk_f16_f32 v155, v22, v23                            // 00000000C8D4: D267009B 00022F16
	v_accvgpr_read_b32 v22, a188                               // 00000000C8DC: D3D84016 180001BC
	v_accvgpr_read_b32 v23, a189                               // 00000000C8E4: D3D84017 180001BD
	v_mul_f32_e32 v22, s47, v22                                // 00000000C8EC: 0A2C2C2F
	v_mul_f32_e32 v23, s47, v23                                // 00000000C8F0: 0A2E2E2F
	v_cvt_pk_f16_f32 v156, v22, v23                            // 00000000C8F4: D267009C 00022F16
	v_accvgpr_read_b32 v22, a190                               // 00000000C8FC: D3D84016 180001BE
	v_accvgpr_read_b32 v23, a191                               // 00000000C904: D3D84017 180001BF
	v_mul_f32_e32 v22, s47, v22                                // 00000000C90C: 0A2C2C2F
	v_mul_f32_e32 v23, s47, v23                                // 00000000C910: 0A2E2E2F
	v_cvt_pk_f16_f32 v157, v22, v23                            // 00000000C914: D267009D 00022F16
	ds_write_b64 v18, v[126:127]                               // 00000000C91C: D89A0000 00007E12
	ds_write_b64 v18, v[128:129] offset:528                    // 00000000C924: D89A0210 00008012
	ds_write_b64 v18, v[130:131] offset:1056                   // 00000000C92C: D89A0420 00008212
	ds_write_b64 v18, v[132:133] offset:1584                   // 00000000C934: D89A0630 00008412
	ds_write_b64 v18, v[134:135] offset:2112                   // 00000000C93C: D89A0840 00008612
	ds_write_b64 v18, v[136:137] offset:2640                   // 00000000C944: D89A0A50 00008812
	ds_write_b64 v18, v[138:139] offset:3168                   // 00000000C94C: D89A0C60 00008A12
	ds_write_b64 v18, v[140:141] offset:3696                   // 00000000C954: D89A0E70 00008C12
	ds_write_b64 v18, v[142:143] offset:4224                   // 00000000C95C: D89A1080 00008E12
	ds_write_b64 v18, v[144:145] offset:4752                   // 00000000C964: D89A1290 00009012
	ds_write_b64 v18, v[146:147] offset:5280                   // 00000000C96C: D89A14A0 00009212
	ds_write_b64 v18, v[148:149] offset:5808                   // 00000000C974: D89A16B0 00009412
	ds_write_b64 v18, v[150:151] offset:6336                   // 00000000C97C: D89A18C0 00009612
	ds_write_b64 v18, v[152:153] offset:6864                   // 00000000C984: D89A1AD0 00009812
	ds_write_b64 v18, v[154:155] offset:7392                   // 00000000C98C: D89A1CE0 00009A12
	ds_write_b64 v18, v[156:157] offset:7920                   // 00000000C994: D89A1EF0 00009C12
	s_waitcnt lgkmcnt(0)                                       // 00000000C99C: BF8CC07F
	s_barrier                                                  // 00000000C9A0: BF8A0000
	ds_read_b64 v[126:127], v17                                // 00000000C9A4: D8EC0000 7E000011
	ds_read_b64 v[128:129], v17 offset:256                     // 00000000C9AC: D8EC0100 80000011
	ds_read_b64 v[130:131], v17 offset:32                      // 00000000C9B4: D8EC0020 82000011
	ds_read_b64 v[132:133], v17 offset:288                     // 00000000C9BC: D8EC0120 84000011
	ds_read_b64 v[134:135], v17 offset:64                      // 00000000C9C4: D8EC0040 86000011
	ds_read_b64 v[136:137], v17 offset:320                     // 00000000C9CC: D8EC0140 88000011
	ds_read_b64 v[138:139], v17 offset:96                      // 00000000C9D4: D8EC0060 8A000011
	ds_read_b64 v[140:141], v17 offset:352                     // 00000000C9DC: D8EC0160 8C000011
	ds_read_b64 v[142:143], v17 offset:128                     // 00000000C9E4: D8EC0080 8E000011
	ds_read_b64 v[144:145], v17 offset:384                     // 00000000C9EC: D8EC0180 90000011
	ds_read_b64 v[146:147], v17 offset:160                     // 00000000C9F4: D8EC00A0 92000011
	ds_read_b64 v[148:149], v17 offset:416                     // 00000000C9FC: D8EC01A0 94000011
	ds_read_b64 v[150:151], v17 offset:192                     // 00000000CA04: D8EC00C0 96000011
	ds_read_b64 v[152:153], v17 offset:448                     // 00000000CA0C: D8EC01C0 98000011
	ds_read_b64 v[154:155], v17 offset:224                     // 00000000CA14: D8EC00E0 9A000011
	ds_read_b64 v[156:157], v17 offset:480                     // 00000000CA1C: D8EC01E0 9C000011
	s_waitcnt lgkmcnt(0)                                       // 00000000CA24: BF8CC07F
	s_mov_b32 s70, s52                                         // 00000000CA28: BEC60034
	s_mov_b64 exec, s[44:45]                                   // 00000000CA2C: BEFE012C
	buffer_store_dwordx4 v[126:129], v2, s[36:39], 0 idxen     // 00000000CA30: E07C2000 80097E02
	s_mov_b64 exec, s[100:101]                                 // 00000000CA38: BEFE0164
	v_add_u32_e32 v2, s70, v2                                  // 00000000CA3C: 68040446
	s_mov_b64 exec, s[44:45]                                   // 00000000CA40: BEFE012C
	buffer_store_dwordx4 v[130:133], v2, s[36:39], 0 idxen     // 00000000CA44: E07C2000 80098202
	s_mov_b64 exec, s[100:101]                                 // 00000000CA4C: BEFE0164
	v_add_u32_e32 v2, s70, v2                                  // 00000000CA50: 68040446
	s_mov_b64 exec, s[44:45]                                   // 00000000CA54: BEFE012C
	buffer_store_dwordx4 v[134:137], v2, s[36:39], 0 idxen     // 00000000CA58: E07C2000 80098602
	s_mov_b64 exec, s[100:101]                                 // 00000000CA60: BEFE0164
	v_add_u32_e32 v2, s70, v2                                  // 00000000CA64: 68040446
	s_mov_b64 exec, s[44:45]                                   // 00000000CA68: BEFE012C
	buffer_store_dwordx4 v[138:141], v2, s[36:39], 0 idxen     // 00000000CA6C: E07C2000 80098A02
	s_mov_b64 exec, s[100:101]                                 // 00000000CA74: BEFE0164
	v_add_u32_e32 v2, s70, v2                                  // 00000000CA78: 68040446
	s_mul_i32 s60, 12, s70                                     // 00000000CA7C: 923C468C
	v_add_u32_e32 v2, s60, v2                                  // 00000000CA80: 6804043C
	s_mov_b64 exec, s[44:45]                                   // 00000000CA84: BEFE012C
	buffer_store_dwordx4 v[142:145], v2, s[36:39], 0 idxen     // 00000000CA88: E07C2000 80098E02
	s_mov_b64 exec, s[100:101]                                 // 00000000CA90: BEFE0164
	v_add_u32_e32 v2, s70, v2                                  // 00000000CA94: 68040446
	s_mov_b64 exec, s[44:45]                                   // 00000000CA98: BEFE012C
	buffer_store_dwordx4 v[146:149], v2, s[36:39], 0 idxen     // 00000000CA9C: E07C2000 80099202
	s_mov_b64 exec, s[100:101]                                 // 00000000CAA4: BEFE0164
	v_add_u32_e32 v2, s70, v2                                  // 00000000CAA8: 68040446
	s_mov_b64 exec, s[44:45]                                   // 00000000CAAC: BEFE012C
	buffer_store_dwordx4 v[150:153], v2, s[36:39], 0 idxen     // 00000000CAB0: E07C2000 80099602
	s_mov_b64 exec, s[100:101]                                 // 00000000CAB8: BEFE0164
	v_add_u32_e32 v2, s70, v2                                  // 00000000CABC: 68040446
	s_mov_b64 exec, s[44:45]                                   // 00000000CAC0: BEFE012C
	buffer_store_dwordx4 v[154:157], v2, s[36:39], 0 idxen     // 00000000CAC4: E07C2000 80099A02
	s_mov_b64 exec, s[100:101]                                 // 00000000CACC: BEFE0164
	v_add_u32_e32 v2, s70, v2                                  // 00000000CAD0: 68040446
	s_mul_i32 s60, 12, s70                                     // 00000000CAD4: 923C468C
	v_add_u32_e32 v2, s60, v2                                  // 00000000CAD8: 6804043C
	s_cmp_ge_i32 1, s72                                        // 00000000CADC: BF034881
	s_cbranch_scc1 label_2453                                  // 00000000CAE0: BF850172
	v_accvgpr_read_b32 v22, a192                               // 00000000CAE4: D3D84016 180001C0
	v_accvgpr_read_b32 v23, a193                               // 00000000CAEC: D3D84017 180001C1
	v_mul_f32_e32 v22, s47, v22                                // 00000000CAF4: 0A2C2C2F
	v_mul_f32_e32 v23, s47, v23                                // 00000000CAF8: 0A2E2E2F
	v_cvt_pk_f16_f32 v158, v22, v23                            // 00000000CAFC: D267009E 00022F16
	v_accvgpr_read_b32 v22, a194                               // 00000000CB04: D3D84016 180001C2
	v_accvgpr_read_b32 v23, a195                               // 00000000CB0C: D3D84017 180001C3
	v_mul_f32_e32 v22, s47, v22                                // 00000000CB14: 0A2C2C2F
	v_mul_f32_e32 v23, s47, v23                                // 00000000CB18: 0A2E2E2F
	v_cvt_pk_f16_f32 v159, v22, v23                            // 00000000CB1C: D267009F 00022F16
	v_accvgpr_read_b32 v22, a196                               // 00000000CB24: D3D84016 180001C4
	v_accvgpr_read_b32 v23, a197                               // 00000000CB2C: D3D84017 180001C5
	v_mul_f32_e32 v22, s47, v22                                // 00000000CB34: 0A2C2C2F
	v_mul_f32_e32 v23, s47, v23                                // 00000000CB38: 0A2E2E2F
	v_cvt_pk_f16_f32 v160, v22, v23                            // 00000000CB3C: D26700A0 00022F16
	v_accvgpr_read_b32 v22, a198                               // 00000000CB44: D3D84016 180001C6
	v_accvgpr_read_b32 v23, a199                               // 00000000CB4C: D3D84017 180001C7
	v_mul_f32_e32 v22, s47, v22                                // 00000000CB54: 0A2C2C2F
	v_mul_f32_e32 v23, s47, v23                                // 00000000CB58: 0A2E2E2F
	v_cvt_pk_f16_f32 v161, v22, v23                            // 00000000CB5C: D26700A1 00022F16
	v_accvgpr_read_b32 v22, a200                               // 00000000CB64: D3D84016 180001C8
	v_accvgpr_read_b32 v23, a201                               // 00000000CB6C: D3D84017 180001C9
	v_mul_f32_e32 v22, s47, v22                                // 00000000CB74: 0A2C2C2F
	v_mul_f32_e32 v23, s47, v23                                // 00000000CB78: 0A2E2E2F
	v_cvt_pk_f16_f32 v162, v22, v23                            // 00000000CB7C: D26700A2 00022F16
	v_accvgpr_read_b32 v22, a202                               // 00000000CB84: D3D84016 180001CA
	v_accvgpr_read_b32 v23, a203                               // 00000000CB8C: D3D84017 180001CB
	v_mul_f32_e32 v22, s47, v22                                // 00000000CB94: 0A2C2C2F
	v_mul_f32_e32 v23, s47, v23                                // 00000000CB98: 0A2E2E2F
	v_cvt_pk_f16_f32 v163, v22, v23                            // 00000000CB9C: D26700A3 00022F16
	v_accvgpr_read_b32 v22, a204                               // 00000000CBA4: D3D84016 180001CC
	v_accvgpr_read_b32 v23, a205                               // 00000000CBAC: D3D84017 180001CD
	v_mul_f32_e32 v22, s47, v22                                // 00000000CBB4: 0A2C2C2F
	v_mul_f32_e32 v23, s47, v23                                // 00000000CBB8: 0A2E2E2F
	v_cvt_pk_f16_f32 v164, v22, v23                            // 00000000CBBC: D26700A4 00022F16
	v_accvgpr_read_b32 v22, a206                               // 00000000CBC4: D3D84016 180001CE
	v_accvgpr_read_b32 v23, a207                               // 00000000CBCC: D3D84017 180001CF
	v_mul_f32_e32 v22, s47, v22                                // 00000000CBD4: 0A2C2C2F
	v_mul_f32_e32 v23, s47, v23                                // 00000000CBD8: 0A2E2E2F
	v_cvt_pk_f16_f32 v165, v22, v23                            // 00000000CBDC: D26700A5 00022F16
	v_accvgpr_read_b32 v22, a208                               // 00000000CBE4: D3D84016 180001D0
	v_accvgpr_read_b32 v23, a209                               // 00000000CBEC: D3D84017 180001D1
	v_mul_f32_e32 v22, s47, v22                                // 00000000CBF4: 0A2C2C2F
	v_mul_f32_e32 v23, s47, v23                                // 00000000CBF8: 0A2E2E2F
	v_cvt_pk_f16_f32 v166, v22, v23                            // 00000000CBFC: D26700A6 00022F16
	v_accvgpr_read_b32 v22, a210                               // 00000000CC04: D3D84016 180001D2
	v_accvgpr_read_b32 v23, a211                               // 00000000CC0C: D3D84017 180001D3
	v_mul_f32_e32 v22, s47, v22                                // 00000000CC14: 0A2C2C2F
	v_mul_f32_e32 v23, s47, v23                                // 00000000CC18: 0A2E2E2F
	v_cvt_pk_f16_f32 v167, v22, v23                            // 00000000CC1C: D26700A7 00022F16
	v_accvgpr_read_b32 v22, a212                               // 00000000CC24: D3D84016 180001D4
	v_accvgpr_read_b32 v23, a213                               // 00000000CC2C: D3D84017 180001D5
	v_mul_f32_e32 v22, s47, v22                                // 00000000CC34: 0A2C2C2F
	v_mul_f32_e32 v23, s47, v23                                // 00000000CC38: 0A2E2E2F
	v_cvt_pk_f16_f32 v168, v22, v23                            // 00000000CC3C: D26700A8 00022F16
	v_accvgpr_read_b32 v22, a214                               // 00000000CC44: D3D84016 180001D6
	v_accvgpr_read_b32 v23, a215                               // 00000000CC4C: D3D84017 180001D7
	v_mul_f32_e32 v22, s47, v22                                // 00000000CC54: 0A2C2C2F
	v_mul_f32_e32 v23, s47, v23                                // 00000000CC58: 0A2E2E2F
	v_cvt_pk_f16_f32 v169, v22, v23                            // 00000000CC5C: D26700A9 00022F16
	v_accvgpr_read_b32 v22, a216                               // 00000000CC64: D3D84016 180001D8
	v_accvgpr_read_b32 v23, a217                               // 00000000CC6C: D3D84017 180001D9
	v_mul_f32_e32 v22, s47, v22                                // 00000000CC74: 0A2C2C2F
	v_mul_f32_e32 v23, s47, v23                                // 00000000CC78: 0A2E2E2F
	v_cvt_pk_f16_f32 v170, v22, v23                            // 00000000CC7C: D26700AA 00022F16
	v_accvgpr_read_b32 v22, a218                               // 00000000CC84: D3D84016 180001DA
	v_accvgpr_read_b32 v23, a219                               // 00000000CC8C: D3D84017 180001DB
	v_mul_f32_e32 v22, s47, v22                                // 00000000CC94: 0A2C2C2F
	v_mul_f32_e32 v23, s47, v23                                // 00000000CC98: 0A2E2E2F
	v_cvt_pk_f16_f32 v171, v22, v23                            // 00000000CC9C: D26700AB 00022F16
	v_accvgpr_read_b32 v22, a220                               // 00000000CCA4: D3D84016 180001DC
	v_accvgpr_read_b32 v23, a221                               // 00000000CCAC: D3D84017 180001DD
	v_mul_f32_e32 v22, s47, v22                                // 00000000CCB4: 0A2C2C2F
	v_mul_f32_e32 v23, s47, v23                                // 00000000CCB8: 0A2E2E2F
	v_cvt_pk_f16_f32 v172, v22, v23                            // 00000000CCBC: D26700AC 00022F16
	v_accvgpr_read_b32 v22, a222                               // 00000000CCC4: D3D84016 180001DE
	v_accvgpr_read_b32 v23, a223                               // 00000000CCCC: D3D84017 180001DF
	v_mul_f32_e32 v22, s47, v22                                // 00000000CCD4: 0A2C2C2F
	v_mul_f32_e32 v23, s47, v23                                // 00000000CCD8: 0A2E2E2F
	v_cvt_pk_f16_f32 v173, v22, v23                            // 00000000CCDC: D26700AD 00022F16
	v_accvgpr_read_b32 v22, a224                               // 00000000CCE4: D3D84016 180001E0
	v_accvgpr_read_b32 v23, a225                               // 00000000CCEC: D3D84017 180001E1
	v_mul_f32_e32 v22, s47, v22                                // 00000000CCF4: 0A2C2C2F
	v_mul_f32_e32 v23, s47, v23                                // 00000000CCF8: 0A2E2E2F
	v_cvt_pk_f16_f32 v174, v22, v23                            // 00000000CCFC: D26700AE 00022F16
	v_accvgpr_read_b32 v22, a226                               // 00000000CD04: D3D84016 180001E2
	v_accvgpr_read_b32 v23, a227                               // 00000000CD0C: D3D84017 180001E3
	v_mul_f32_e32 v22, s47, v22                                // 00000000CD14: 0A2C2C2F
	v_mul_f32_e32 v23, s47, v23                                // 00000000CD18: 0A2E2E2F
	v_cvt_pk_f16_f32 v175, v22, v23                            // 00000000CD1C: D26700AF 00022F16
	v_accvgpr_read_b32 v22, a228                               // 00000000CD24: D3D84016 180001E4
	v_accvgpr_read_b32 v23, a229                               // 00000000CD2C: D3D84017 180001E5
	v_mul_f32_e32 v22, s47, v22                                // 00000000CD34: 0A2C2C2F
	v_mul_f32_e32 v23, s47, v23                                // 00000000CD38: 0A2E2E2F
	v_cvt_pk_f16_f32 v176, v22, v23                            // 00000000CD3C: D26700B0 00022F16
	v_accvgpr_read_b32 v22, a230                               // 00000000CD44: D3D84016 180001E6
	v_accvgpr_read_b32 v23, a231                               // 00000000CD4C: D3D84017 180001E7
	v_mul_f32_e32 v22, s47, v22                                // 00000000CD54: 0A2C2C2F
	v_mul_f32_e32 v23, s47, v23                                // 00000000CD58: 0A2E2E2F
	v_cvt_pk_f16_f32 v177, v22, v23                            // 00000000CD5C: D26700B1 00022F16
	v_accvgpr_read_b32 v22, a232                               // 00000000CD64: D3D84016 180001E8
	v_accvgpr_read_b32 v23, a233                               // 00000000CD6C: D3D84017 180001E9
	v_mul_f32_e32 v22, s47, v22                                // 00000000CD74: 0A2C2C2F
	v_mul_f32_e32 v23, s47, v23                                // 00000000CD78: 0A2E2E2F
	v_cvt_pk_f16_f32 v178, v22, v23                            // 00000000CD7C: D26700B2 00022F16
	v_accvgpr_read_b32 v22, a234                               // 00000000CD84: D3D84016 180001EA
	v_accvgpr_read_b32 v23, a235                               // 00000000CD8C: D3D84017 180001EB
	v_mul_f32_e32 v22, s47, v22                                // 00000000CD94: 0A2C2C2F
	v_mul_f32_e32 v23, s47, v23                                // 00000000CD98: 0A2E2E2F
	v_cvt_pk_f16_f32 v179, v22, v23                            // 00000000CD9C: D26700B3 00022F16
	v_accvgpr_read_b32 v22, a236                               // 00000000CDA4: D3D84016 180001EC
	v_accvgpr_read_b32 v23, a237                               // 00000000CDAC: D3D84017 180001ED
	v_mul_f32_e32 v22, s47, v22                                // 00000000CDB4: 0A2C2C2F
	v_mul_f32_e32 v23, s47, v23                                // 00000000CDB8: 0A2E2E2F
	v_cvt_pk_f16_f32 v180, v22, v23                            // 00000000CDBC: D26700B4 00022F16
	v_accvgpr_read_b32 v22, a238                               // 00000000CDC4: D3D84016 180001EE
	v_accvgpr_read_b32 v23, a239                               // 00000000CDCC: D3D84017 180001EF
	v_mul_f32_e32 v22, s47, v22                                // 00000000CDD4: 0A2C2C2F
	v_mul_f32_e32 v23, s47, v23                                // 00000000CDD8: 0A2E2E2F
	v_cvt_pk_f16_f32 v181, v22, v23                            // 00000000CDDC: D26700B5 00022F16
	v_accvgpr_read_b32 v22, a240                               // 00000000CDE4: D3D84016 180001F0
	v_accvgpr_read_b32 v23, a241                               // 00000000CDEC: D3D84017 180001F1
	v_mul_f32_e32 v22, s47, v22                                // 00000000CDF4: 0A2C2C2F
	v_mul_f32_e32 v23, s47, v23                                // 00000000CDF8: 0A2E2E2F
	v_cvt_pk_f16_f32 v182, v22, v23                            // 00000000CDFC: D26700B6 00022F16
	v_accvgpr_read_b32 v22, a242                               // 00000000CE04: D3D84016 180001F2
	v_accvgpr_read_b32 v23, a243                               // 00000000CE0C: D3D84017 180001F3
	v_mul_f32_e32 v22, s47, v22                                // 00000000CE14: 0A2C2C2F
	v_mul_f32_e32 v23, s47, v23                                // 00000000CE18: 0A2E2E2F
	v_cvt_pk_f16_f32 v183, v22, v23                            // 00000000CE1C: D26700B7 00022F16
	v_accvgpr_read_b32 v22, a244                               // 00000000CE24: D3D84016 180001F4
	v_accvgpr_read_b32 v23, a245                               // 00000000CE2C: D3D84017 180001F5
	v_mul_f32_e32 v22, s47, v22                                // 00000000CE34: 0A2C2C2F
	v_mul_f32_e32 v23, s47, v23                                // 00000000CE38: 0A2E2E2F
	v_cvt_pk_f16_f32 v184, v22, v23                            // 00000000CE3C: D26700B8 00022F16
	v_accvgpr_read_b32 v22, a246                               // 00000000CE44: D3D84016 180001F6
	v_accvgpr_read_b32 v23, a247                               // 00000000CE4C: D3D84017 180001F7
	v_mul_f32_e32 v22, s47, v22                                // 00000000CE54: 0A2C2C2F
	v_mul_f32_e32 v23, s47, v23                                // 00000000CE58: 0A2E2E2F
	v_cvt_pk_f16_f32 v185, v22, v23                            // 00000000CE5C: D26700B9 00022F16
	v_accvgpr_read_b32 v22, a248                               // 00000000CE64: D3D84016 180001F8
	v_accvgpr_read_b32 v23, a249                               // 00000000CE6C: D3D84017 180001F9
	v_mul_f32_e32 v22, s47, v22                                // 00000000CE74: 0A2C2C2F
	v_mul_f32_e32 v23, s47, v23                                // 00000000CE78: 0A2E2E2F
	v_cvt_pk_f16_f32 v186, v22, v23                            // 00000000CE7C: D26700BA 00022F16
	v_accvgpr_read_b32 v22, a250                               // 00000000CE84: D3D84016 180001FA
	v_accvgpr_read_b32 v23, a251                               // 00000000CE8C: D3D84017 180001FB
	v_mul_f32_e32 v22, s47, v22                                // 00000000CE94: 0A2C2C2F
	v_mul_f32_e32 v23, s47, v23                                // 00000000CE98: 0A2E2E2F
	v_cvt_pk_f16_f32 v187, v22, v23                            // 00000000CE9C: D26700BB 00022F16
	v_accvgpr_read_b32 v22, a252                               // 00000000CEA4: D3D84016 180001FC
	v_accvgpr_read_b32 v23, a253                               // 00000000CEAC: D3D84017 180001FD
	v_mul_f32_e32 v22, s47, v22                                // 00000000CEB4: 0A2C2C2F
	v_mul_f32_e32 v23, s47, v23                                // 00000000CEB8: 0A2E2E2F
	v_cvt_pk_f16_f32 v188, v22, v23                            // 00000000CEBC: D26700BC 00022F16
	v_accvgpr_read_b32 v22, a254                               // 00000000CEC4: D3D84016 180001FE
	v_accvgpr_read_b32 v23, a255                               // 00000000CECC: D3D84017 180001FF
	v_mul_f32_e32 v22, s47, v22                                // 00000000CED4: 0A2C2C2F
	v_mul_f32_e32 v23, s47, v23                                // 00000000CED8: 0A2E2E2F
	v_cvt_pk_f16_f32 v189, v22, v23                            // 00000000CEDC: D26700BD 00022F16
	ds_write_b64 v18, v[158:159] offset:33792                  // 00000000CEE4: D89A8400 00009E12
	ds_write_b64 v18, v[160:161] offset:34320                  // 00000000CEEC: D89A8610 0000A012
	ds_write_b64 v18, v[162:163] offset:34848                  // 00000000CEF4: D89A8820 0000A212
	ds_write_b64 v18, v[164:165] offset:35376                  // 00000000CEFC: D89A8A30 0000A412
	ds_write_b64 v18, v[166:167] offset:35904                  // 00000000CF04: D89A8C40 0000A612
	ds_write_b64 v18, v[168:169] offset:36432                  // 00000000CF0C: D89A8E50 0000A812
	ds_write_b64 v18, v[170:171] offset:36960                  // 00000000CF14: D89A9060 0000AA12
	ds_write_b64 v18, v[172:173] offset:37488                  // 00000000CF1C: D89A9270 0000AC12
	ds_write_b64 v18, v[174:175] offset:38016                  // 00000000CF24: D89A9480 0000AE12
	ds_write_b64 v18, v[176:177] offset:38544                  // 00000000CF2C: D89A9690 0000B012
	ds_write_b64 v18, v[178:179] offset:39072                  // 00000000CF34: D89A98A0 0000B212
	ds_write_b64 v18, v[180:181] offset:39600                  // 00000000CF3C: D89A9AB0 0000B412
	ds_write_b64 v18, v[182:183] offset:40128                  // 00000000CF44: D89A9CC0 0000B612
	ds_write_b64 v18, v[184:185] offset:40656                  // 00000000CF4C: D89A9ED0 0000B812
	ds_write_b64 v18, v[186:187] offset:41184                  // 00000000CF54: D89AA0E0 0000BA12
	ds_write_b64 v18, v[188:189] offset:41712                  // 00000000CF5C: D89AA2F0 0000BC12
	s_waitcnt lgkmcnt(0)                                       // 00000000CF64: BF8CC07F
	s_barrier                                                  // 00000000CF68: BF8A0000
	ds_read_b64 v[158:159], v17 offset:33792                   // 00000000CF6C: D8EC8400 9E000011
	ds_read_b64 v[160:161], v17 offset:34048                   // 00000000CF74: D8EC8500 A0000011
	ds_read_b64 v[162:163], v17 offset:33824                   // 00000000CF7C: D8EC8420 A2000011
	ds_read_b64 v[164:165], v17 offset:34080                   // 00000000CF84: D8EC8520 A4000011
	ds_read_b64 v[166:167], v17 offset:33856                   // 00000000CF8C: D8EC8440 A6000011
	ds_read_b64 v[168:169], v17 offset:34112                   // 00000000CF94: D8EC8540 A8000011
	ds_read_b64 v[170:171], v17 offset:33888                   // 00000000CF9C: D8EC8460 AA000011
	ds_read_b64 v[172:173], v17 offset:34144                   // 00000000CFA4: D8EC8560 AC000011
	ds_read_b64 v[174:175], v17 offset:33920                   // 00000000CFAC: D8EC8480 AE000011
	ds_read_b64 v[176:177], v17 offset:34176                   // 00000000CFB4: D8EC8580 B0000011
	ds_read_b64 v[178:179], v17 offset:33952                   // 00000000CFBC: D8EC84A0 B2000011
	ds_read_b64 v[180:181], v17 offset:34208                   // 00000000CFC4: D8EC85A0 B4000011
	ds_read_b64 v[182:183], v17 offset:33984                   // 00000000CFCC: D8EC84C0 B6000011
	ds_read_b64 v[184:185], v17 offset:34240                   // 00000000CFD4: D8EC85C0 B8000011
	ds_read_b64 v[186:187], v17 offset:34016                   // 00000000CFDC: D8EC84E0 BA000011
	ds_read_b64 v[188:189], v17 offset:34272                   // 00000000CFE4: D8EC85E0 BC000011
	s_waitcnt lgkmcnt(0)                                       // 00000000CFEC: BF8CC07F
	s_mov_b32 s70, s52                                         // 00000000CFF0: BEC60034
	s_mov_b64 exec, s[44:45]                                   // 00000000CFF4: BEFE012C
	buffer_store_dwordx4 v[158:161], v2, s[36:39], 0 idxen     // 00000000CFF8: E07C2000 80099E02
	s_mov_b64 exec, s[100:101]                                 // 00000000D000: BEFE0164
	v_add_u32_e32 v2, s70, v2                                  // 00000000D004: 68040446
	s_mov_b64 exec, s[44:45]                                   // 00000000D008: BEFE012C
	buffer_store_dwordx4 v[162:165], v2, s[36:39], 0 idxen     // 00000000D00C: E07C2000 8009A202
	s_mov_b64 exec, s[100:101]                                 // 00000000D014: BEFE0164
	v_add_u32_e32 v2, s70, v2                                  // 00000000D018: 68040446
	s_mov_b64 exec, s[44:45]                                   // 00000000D01C: BEFE012C
	buffer_store_dwordx4 v[166:169], v2, s[36:39], 0 idxen     // 00000000D020: E07C2000 8009A602
	s_mov_b64 exec, s[100:101]                                 // 00000000D028: BEFE0164
	v_add_u32_e32 v2, s70, v2                                  // 00000000D02C: 68040446
	s_mov_b64 exec, s[44:45]                                   // 00000000D030: BEFE012C
	buffer_store_dwordx4 v[170:173], v2, s[36:39], 0 idxen     // 00000000D034: E07C2000 8009AA02
	s_mov_b64 exec, s[100:101]                                 // 00000000D03C: BEFE0164
	v_add_u32_e32 v2, s70, v2                                  // 00000000D040: 68040446
	s_mul_i32 s60, 12, s70                                     // 00000000D044: 923C468C
	v_add_u32_e32 v2, s60, v2                                  // 00000000D048: 6804043C
	s_mov_b64 exec, s[44:45]                                   // 00000000D04C: BEFE012C
	buffer_store_dwordx4 v[174:177], v2, s[36:39], 0 idxen     // 00000000D050: E07C2000 8009AE02
	s_mov_b64 exec, s[100:101]                                 // 00000000D058: BEFE0164
	v_add_u32_e32 v2, s70, v2                                  // 00000000D05C: 68040446
	s_mov_b64 exec, s[44:45]                                   // 00000000D060: BEFE012C
	buffer_store_dwordx4 v[178:181], v2, s[36:39], 0 idxen     // 00000000D064: E07C2000 8009B202
	s_mov_b64 exec, s[100:101]                                 // 00000000D06C: BEFE0164
	v_add_u32_e32 v2, s70, v2                                  // 00000000D070: 68040446
	s_mov_b64 exec, s[44:45]                                   // 00000000D074: BEFE012C
	buffer_store_dwordx4 v[182:185], v2, s[36:39], 0 idxen     // 00000000D078: E07C2000 8009B602
	s_mov_b64 exec, s[100:101]                                 // 00000000D080: BEFE0164
	v_add_u32_e32 v2, s70, v2                                  // 00000000D084: 68040446
	s_mov_b64 exec, s[44:45]                                   // 00000000D088: BEFE012C
	buffer_store_dwordx4 v[186:189], v2, s[36:39], 0 idxen     // 00000000D08C: E07C2000 8009BA02
	s_mov_b64 exec, s[100:101]                                 // 00000000D094: BEFE0164
	v_add_u32_e32 v2, s70, v2                                  // 00000000D098: 68040446
	s_mul_i32 s60, 12, s70                                     // 00000000D09C: 923C468C
	v_add_u32_e32 v2, s60, v2                                  // 00000000D0A0: 6804043C
	s_cmp_ge_i32 2, s72                                        // 00000000D0A4: BF034882
	s_cbranch_scc1 label_2453                                  // 00000000D0A8: BF850000

000000000000d0ac <label_2453>:
	s_waitcnt vmcnt(0) expcnt(0) lgkmcnt(0)                    // 00000000D0AC: BF8C0000
	s_sub_i32 s60, s77, 1                                      // 00000000D0B0: 81BC814D
	s_sub_i32 s2, s60, s2                                      // 00000000D0B4: 8182023C
	s_addk_i32 s75, 0x1                                        // 00000000D0B8: B74B0001
	s_cmp_lt_i32 s75, s76                                      // 00000000D0BC: BF044C4B
	s_cbranch_scc1 label_0173                                  // 00000000D0C0: BF85DD42

000000000000d0c4 <label_2459>:
	s_waitcnt vmcnt(0) expcnt(0) lgkmcnt(0)                    // 00000000D0C4: BF8C0000
	s_endpgm                                                   // 00000000D0C8: BF810000
